;; amdgpu-corpus repo=ROCm/rocFFT kind=compiled arch=gfx906 opt=O3
	.text
	.amdgcn_target "amdgcn-amd-amdhsa--gfx906"
	.amdhsa_code_object_version 6
	.protected	bluestein_single_back_len748_dim1_dp_op_CI_CI ; -- Begin function bluestein_single_back_len748_dim1_dp_op_CI_CI
	.globl	bluestein_single_back_len748_dim1_dp_op_CI_CI
	.p2align	8
	.type	bluestein_single_back_len748_dim1_dp_op_CI_CI,@function
bluestein_single_back_len748_dim1_dp_op_CI_CI: ; @bluestein_single_back_len748_dim1_dp_op_CI_CI
; %bb.0:
	s_mov_b64 s[66:67], s[2:3]
	v_mul_u32_u24_e32 v1, 0x3c4, v0
	s_mov_b64 s[64:65], s[0:1]
	s_load_dwordx4 s[0:3], s[4:5], 0x28
	v_lshrrev_b32_e32 v1, 16, v1
	s_add_u32 s64, s64, s7
	v_mad_u64_u32 v[3:4], s[6:7], s6, 3, v[1:2]
	v_mov_b32_e32 v4, 0
	s_addc_u32 s65, s65, 0
	s_waitcnt lgkmcnt(0)
	v_cmp_gt_u64_e32 vcc, s[0:1], v[3:4]
	s_and_saveexec_b64 s[0:1], vcc
	s_cbranch_execz .LBB0_23
; %bb.1:
	s_mov_b32 s0, 0xaaaaaaab
	v_mul_hi_u32 v2, v3, s0
	v_mul_lo_u16_e32 v1, 0x44, v1
	s_load_dwordx2 s[12:13], s[4:5], 0x0
	s_load_dwordx2 s[14:15], s[4:5], 0x38
	v_sub_u16_e32 v141, v0, v1
	v_lshrrev_b32_e32 v0, 1, v2
	v_lshl_add_u32 v0, v0, 1, v0
	v_sub_u32_e32 v0, v3, v0
	v_mov_b32_e32 v1, v3
	v_mul_u32_u24_e32 v180, 0x2ec, v0
	v_lshlrev_b32_e32 v0, 4, v141
	buffer_store_dword v1, off, s[64:67], 0 offset:76 ; 4-byte Folded Spill
	s_nop 0
	buffer_store_dword v2, off, s[64:67], 0 offset:80 ; 4-byte Folded Spill
	v_cmp_gt_u16_e32 vcc, 44, v141
	buffer_store_dword v0, off, s[64:67], 0 offset:72 ; 4-byte Folded Spill
	v_lshlrev_b32_e32 v0, 4, v180
	buffer_store_dword v0, off, s[64:67], 0 offset:68 ; 4-byte Folded Spill
	s_and_saveexec_b64 s[6:7], vcc
	s_cbranch_execz .LBB0_3
; %bb.2:
	s_load_dwordx2 s[0:1], s[4:5], 0x18
	v_lshlrev_b32_e32 v142, 4, v141
	s_waitcnt lgkmcnt(0)
	v_mov_b32_e32 v32, s13
	v_or_b32_e32 v125, 0x2c0, v141
	v_lshlrev_b32_e32 v44, 4, v125
	s_load_dwordx4 s[8:11], s[0:1], 0x0
	buffer_load_dword v0, off, s[64:67], 0 offset:76 ; 4-byte Folded Reload
	buffer_load_dword v1, off, s[64:67], 0 offset:80 ; 4-byte Folded Reload
	s_waitcnt lgkmcnt(0)
	v_mad_u64_u32 v[2:3], s[0:1], s8, v141, 0
	s_waitcnt vmcnt(1)
	v_mov_b32_e32 v4, v0
	s_waitcnt vmcnt(0)
	v_mad_u64_u32 v[0:1], s[0:1], s10, v4, 0
	v_mad_u64_u32 v[4:5], s[0:1], s11, v4, v[1:2]
	;; [unrolled: 1-line block ×3, first 2 shown]
	v_mov_b32_e32 v1, v4
	v_lshlrev_b64 v[0:1], 4, v[0:1]
	v_mov_b32_e32 v3, v5
	v_mov_b32_e32 v6, s3
	v_lshlrev_b64 v[2:3], 4, v[2:3]
	v_add_co_u32_e64 v22, s[0:1], s2, v0
	v_addc_co_u32_e64 v23, s[0:1], v6, v1, s[0:1]
	v_add_co_u32_e64 v20, s[0:1], v22, v2
	v_addc_co_u32_e64 v21, s[0:1], v23, v3, s[0:1]
	v_add_co_u32_e64 v108, s[0:1], s12, v142
	s_movk_i32 s2, 0x1000
	v_addc_co_u32_e64 v109, s[0:1], 0, v32, s[0:1]
	v_add_co_u32_e64 v104, s[0:1], s2, v108
	v_addc_co_u32_e64 v105, s[0:1], 0, v109, s[0:1]
	s_mul_i32 s0, s9, 0x2c0
	s_mul_hi_u32 s1, s8, 0x2c0
	s_mul_i32 s2, s8, 0x2c0
	s_add_i32 s3, s1, s0
	global_load_dwordx4 v[0:3], v142, s[12:13]
	global_load_dwordx4 v[4:7], v[20:21], off
	global_load_dwordx4 v[8:11], v142, s[12:13] offset:704
	global_load_dwordx4 v[12:15], v142, s[12:13] offset:1408
	;; [unrolled: 1-line block ×5, first 2 shown]
	global_load_dwordx4 v[32:35], v44, s[12:13]
	global_load_dwordx4 v[36:39], v[104:105], off offset:128
	global_load_dwordx4 v[40:43], v[104:105], off offset:832
	v_mov_b32_e32 v44, s3
	v_add_co_u32_e64 v20, s[0:1], s2, v20
	v_addc_co_u32_e64 v21, s[0:1], v21, v44, s[0:1]
	v_mov_b32_e32 v49, s3
	v_add_co_u32_e64 v48, s[0:1], s2, v20
	v_addc_co_u32_e64 v49, s[0:1], v21, v49, s[0:1]
	v_mov_b32_e32 v50, s3
	global_load_dwordx4 v[44:47], v[20:21], off
	v_add_co_u32_e64 v20, s[0:1], s2, v48
	v_addc_co_u32_e64 v21, s[0:1], v49, v50, s[0:1]
	v_mov_b32_e32 v56, s3
	v_add_co_u32_e64 v59, s[0:1], s2, v20
	v_addc_co_u32_e64 v60, s[0:1], v21, v56, s[0:1]
	v_mov_b32_e32 v61, s3
	global_load_dwordx4 v[48:51], v[48:49], off
	v_mov_b32_e32 v64, s3
	global_load_dwordx4 v[52:55], v[20:21], off
	v_add_co_u32_e64 v20, s[0:1], s2, v59
	v_addc_co_u32_e64 v21, s[0:1], v60, v61, s[0:1]
	v_add_co_u32_e64 v67, s[0:1], s2, v20
	v_addc_co_u32_e64 v68, s[0:1], v21, v64, s[0:1]
	v_mov_b32_e32 v69, s3
	global_load_dwordx4 v[56:59], v[59:60], off
	v_mov_b32_e32 v72, s3
	global_load_dwordx4 v[60:63], v[20:21], off
	v_add_co_u32_e64 v20, s[0:1], s2, v67
	v_addc_co_u32_e64 v21, s[0:1], v68, v69, s[0:1]
	;; [unrolled: 8-line block ×3, first 2 shown]
	global_load_dwordx4 v[72:75], v[75:76], off
	v_mov_b32_e32 v92, s3
	global_load_dwordx4 v[76:79], v[20:21], off
	v_add_co_u32_e64 v20, s[0:1], s2, v20
	v_addc_co_u32_e64 v21, s[0:1], v21, v88, s[0:1]
	global_load_dwordx4 v[80:83], v[104:105], off offset:1536
	global_load_dwordx4 v[84:87], v[104:105], off offset:2240
	global_load_dwordx4 v[88:91], v[20:21], off
	v_add_co_u32_e64 v20, s[0:1], s2, v20
	v_addc_co_u32_e64 v21, s[0:1], v21, v92, s[0:1]
	global_load_dwordx4 v[92:95], v[20:21], off
	global_load_dwordx4 v[96:99], v[104:105], off offset:2944
	global_load_dwordx4 v[100:103], v[104:105], off offset:3648
	v_mov_b32_e32 v104, s3
	v_add_co_u32_e64 v20, s[0:1], s2, v20
	v_addc_co_u32_e64 v21, s[0:1], v21, v104, s[0:1]
	s_movk_i32 s0, 0x2000
	v_add_co_u32_e64 v132, s[0:1], s0, v108
	v_addc_co_u32_e64 v133, s[0:1], 0, v109, s[0:1]
	global_load_dwordx4 v[104:107], v[20:21], off
	v_mov_b32_e32 v108, s3
	v_add_co_u32_e64 v20, s[0:1], s2, v20
	v_addc_co_u32_e64 v21, s[0:1], v21, v108, s[0:1]
	global_load_dwordx4 v[108:111], v[20:21], off
	global_load_dwordx4 v[112:115], v[132:133], off offset:256
	global_load_dwordx4 v[116:119], v[132:133], off offset:960
	v_mov_b32_e32 v120, s3
	v_add_co_u32_e64 v20, s[0:1], s2, v20
	v_addc_co_u32_e64 v21, s[0:1], v21, v120, s[0:1]
	v_mad_u64_u32 v[138:139], s[0:1], s8, v125, 0
	global_load_dwordx4 v[120:123], v[20:21], off
	v_mov_b32_e32 v124, s3
	v_add_co_u32_e64 v20, s[0:1], s2, v20
	v_addc_co_u32_e64 v21, s[0:1], v21, v124, s[0:1]
	v_mov_b32_e32 v124, v139
	v_mad_u64_u32 v[139:140], s[0:1], s9, v125, v[124:125]
	global_load_dwordx4 v[124:127], v[20:21], off
	global_load_dwordx4 v[128:131], v[132:133], off offset:1664
	s_nop 0
	global_load_dwordx4 v[132:135], v[132:133], off offset:2368
	s_waitcnt vmcnt(31)
	v_mul_f64 v[136:137], v[6:7], v[2:3]
	v_lshlrev_b64 v[20:21], 4, v[138:139]
	v_mul_f64 v[138:139], v[4:5], v[2:3]
	v_add_co_u32_e64 v20, s[0:1], v22, v20
	v_addc_co_u32_e64 v21, s[0:1], v23, v21, s[0:1]
	global_load_dwordx4 v[20:23], v[20:21], off
	v_fma_f64 v[2:3], v[4:5], v[0:1], v[136:137]
	v_lshlrev_b32_e32 v136, 4, v180
	v_fma_f64 v[4:5], v[6:7], v[0:1], -v[138:139]
	v_lshl_add_u32 v6, v141, 4, v136
	s_waitcnt vmcnt(23)
	v_mul_f64 v[0:1], v[46:47], v[10:11]
	v_add_u32_e32 v136, v136, v142
	ds_write_b128 v6, v[2:5]
	v_mul_f64 v[2:3], v[44:45], v[10:11]
	s_waitcnt vmcnt(22)
	v_mul_f64 v[4:5], v[50:51], v[14:15]
	v_mul_f64 v[6:7], v[48:49], v[14:15]
	s_waitcnt vmcnt(21)
	v_mul_f64 v[10:11], v[54:55], v[18:19]
	;; [unrolled: 3-line block ×3, first 2 shown]
	v_mul_f64 v[26:27], v[56:57], v[26:27]
	v_fma_f64 v[0:1], v[44:45], v[8:9], v[0:1]
	v_fma_f64 v[2:3], v[46:47], v[8:9], -v[2:3]
	v_fma_f64 v[4:5], v[48:49], v[12:13], v[4:5]
	v_fma_f64 v[6:7], v[50:51], v[12:13], -v[6:7]
	;; [unrolled: 2-line block ×3, first 2 shown]
	v_fma_f64 v[12:13], v[56:57], v[24:25], v[18:19]
	s_waitcnt vmcnt(19)
	v_mul_f64 v[16:17], v[62:63], v[30:31]
	v_mul_f64 v[18:19], v[60:61], v[30:31]
	v_fma_f64 v[14:15], v[58:59], v[24:25], -v[26:27]
	s_waitcnt vmcnt(18)
	v_mul_f64 v[24:25], v[66:67], v[38:39]
	v_mul_f64 v[26:27], v[64:65], v[38:39]
	s_waitcnt vmcnt(17)
	v_mul_f64 v[30:31], v[70:71], v[42:43]
	v_mul_f64 v[38:39], v[68:69], v[42:43]
	s_waitcnt vmcnt(14)
	v_mul_f64 v[42:43], v[74:75], v[82:83]
	v_mul_f64 v[44:45], v[72:73], v[82:83]
	v_fma_f64 v[16:17], v[60:61], v[28:29], v[16:17]
	v_fma_f64 v[18:19], v[62:63], v[28:29], -v[18:19]
	v_fma_f64 v[24:25], v[64:65], v[36:37], v[24:25]
	v_fma_f64 v[26:27], v[66:67], v[36:37], -v[26:27]
	;; [unrolled: 2-line block ×4, first 2 shown]
	ds_write_b128 v136, v[0:3] offset:704
	ds_write_b128 v136, v[4:7] offset:1408
	;; [unrolled: 1-line block ×8, first 2 shown]
	s_waitcnt vmcnt(13)
	v_mul_f64 v[0:1], v[78:79], v[86:87]
	v_mul_f64 v[2:3], v[76:77], v[86:87]
	s_waitcnt vmcnt(10)
	v_mul_f64 v[4:5], v[90:91], v[98:99]
	v_mul_f64 v[6:7], v[88:89], v[98:99]
	;; [unrolled: 3-line block ×3, first 2 shown]
	v_fma_f64 v[0:1], v[76:77], v[84:85], v[0:1]
	v_fma_f64 v[2:3], v[78:79], v[84:85], -v[2:3]
	s_waitcnt vmcnt(6)
	v_mul_f64 v[12:13], v[106:107], v[114:115]
	v_mul_f64 v[14:15], v[104:105], v[114:115]
	s_waitcnt vmcnt(5)
	v_mul_f64 v[16:17], v[110:111], v[118:119]
	v_mul_f64 v[18:19], v[108:109], v[118:119]
	v_fma_f64 v[4:5], v[88:89], v[96:97], v[4:5]
	v_fma_f64 v[6:7], v[90:91], v[96:97], -v[6:7]
	v_fma_f64 v[8:9], v[92:93], v[100:101], v[8:9]
	v_fma_f64 v[10:11], v[94:95], v[100:101], -v[10:11]
	;; [unrolled: 2-line block ×4, first 2 shown]
	s_waitcnt vmcnt(2)
	v_mul_f64 v[24:25], v[122:123], v[130:131]
	v_mul_f64 v[26:27], v[120:121], v[130:131]
	s_waitcnt vmcnt(1)
	v_mul_f64 v[28:29], v[126:127], v[134:135]
	v_mul_f64 v[30:31], v[124:125], v[134:135]
	v_fma_f64 v[24:25], v[120:121], v[128:129], v[24:25]
	s_waitcnt vmcnt(0)
	v_mul_f64 v[36:37], v[22:23], v[34:35]
	v_mul_f64 v[34:35], v[20:21], v[34:35]
	v_fma_f64 v[26:27], v[122:123], v[128:129], -v[26:27]
	v_fma_f64 v[28:29], v[124:125], v[132:133], v[28:29]
	v_fma_f64 v[30:31], v[126:127], v[132:133], -v[30:31]
	v_fma_f64 v[20:21], v[20:21], v[32:33], v[36:37]
	v_fma_f64 v[22:23], v[22:23], v[32:33], -v[34:35]
	ds_write_b128 v136, v[0:3] offset:6336
	ds_write_b128 v136, v[4:7] offset:7040
	;; [unrolled: 1-line block ×8, first 2 shown]
.LBB0_3:
	s_or_b64 exec, exec, s[6:7]
	buffer_store_dword v141, off, s[64:67], 0 ; 4-byte Folded Spill
	s_waitcnt vmcnt(0) lgkmcnt(0)
	s_barrier
	s_waitcnt lgkmcnt(0)
                                        ; implicit-def: $vgpr20_vgpr21
                                        ; implicit-def: $vgpr68_vgpr69
                                        ; implicit-def: $vgpr72_vgpr73
                                        ; implicit-def: $vgpr24_vgpr25
                                        ; implicit-def: $vgpr28_vgpr29
                                        ; implicit-def: $vgpr32_vgpr33
                                        ; implicit-def: $vgpr36_vgpr37
                                        ; implicit-def: $vgpr48_vgpr49
                                        ; implicit-def: $vgpr56_vgpr57
                                        ; implicit-def: $vgpr60_vgpr61
                                        ; implicit-def: $vgpr64_vgpr65
                                        ; implicit-def: $vgpr44_vgpr45
                                        ; implicit-def: $vgpr40_vgpr41
                                        ; implicit-def: $vgpr52_vgpr53
                                        ; implicit-def: $vgpr84_vgpr85
                                        ; implicit-def: $vgpr80_vgpr81
                                        ; implicit-def: $vgpr76_vgpr77
	s_and_saveexec_b64 s[0:1], vcc
	s_cbranch_execz .LBB0_5
; %bb.4:
	buffer_load_dword v0, off, s[64:67], 0 offset:72 ; 4-byte Folded Reload
	s_waitcnt vmcnt(0)
	v_lshl_add_u32 v0, v180, 4, v0
	ds_read_b128 v[20:23], v0
	ds_read_b128 v[76:79], v0 offset:704
	ds_read_b128 v[80:83], v0 offset:1408
	;; [unrolled: 1-line block ×16, first 2 shown]
.LBB0_5:
	s_or_b64 exec, exec, s[0:1]
	s_waitcnt lgkmcnt(0)
	v_add_f64 v[2:3], v[78:79], -v[66:67]
	s_mov_b32 s34, 0x5d8e7cdc
	s_mov_b32 s35, 0xbfd71e95
	v_add_f64 v[0:1], v[76:77], -v[64:65]
	v_add_f64 v[106:107], v[82:83], -v[62:63]
	s_mov_b32 s40, 0x2a9d6da3
	s_mov_b32 s44, 0x7c9e640b
	;; [unrolled: 1-line block ×3, first 2 shown]
	v_mul_f64 v[4:5], v[2:3], s[34:35]
	s_mov_b32 s24, 0x923c349f
	s_mov_b32 s26, 0x6c9a05f6
	s_mov_b32 s30, 0x4363dd80
	s_mov_b32 s41, 0xbfe58eea
	s_mov_b32 s45, 0xbfeca52d
	s_mov_b32 s39, 0xbfefdd0d
	s_mov_b32 s25, 0xbfeec746
	s_mov_b32 s27, 0xbfe9895b
	s_mov_b32 s31, 0xbfe0d888
	s_load_dwordx2 s[6:7], s[4:5], 0x20
	s_load_dwordx2 s[2:3], s[4:5], 0x8
	v_mul_f64 v[6:7], v[0:1], s[34:35]
	buffer_store_dword v4, off, s[64:67], 0 offset:88 ; 4-byte Folded Spill
	s_nop 0
	buffer_store_dword v5, off, s[64:67], 0 offset:92 ; 4-byte Folded Spill
	v_mul_f64 v[8:9], v[2:3], s[40:41]
	v_mul_f64 v[10:11], v[0:1], s[40:41]
	;; [unrolled: 1-line block ×12, first 2 shown]
	v_add_f64 v[104:105], v[80:81], -v[60:61]
	v_mul_f64 v[108:109], v[106:107], s[40:41]
	buffer_store_dword v6, off, s[64:67], 0 offset:96 ; 4-byte Folded Spill
	s_nop 0
	buffer_store_dword v7, off, s[64:67], 0 offset:100 ; 4-byte Folded Spill
	buffer_store_dword v8, off, s[64:67], 0 offset:104 ; 4-byte Folded Spill
	s_nop 0
	buffer_store_dword v9, off, s[64:67], 0 offset:108 ; 4-byte Folded Spill
	;; [unrolled: 3-line block ×13, first 2 shown]
	v_mul_f64 v[114:115], v[104:105], s[40:41]
	buffer_store_dword v108, off, s[64:67], 0 offset:152 ; 4-byte Folded Spill
	s_nop 0
	buffer_store_dword v109, off, s[64:67], 0 offset:156 ; 4-byte Folded Spill
	buffer_store_dword v114, off, s[64:67], 0 offset:184 ; 4-byte Folded Spill
	s_nop 0
	buffer_store_dword v115, off, s[64:67], 0 offset:188 ; 4-byte Folded Spill
	v_add_f64 v[110:111], v[64:65], v[76:77]
	s_mov_b32 s0, 0x370991
	s_mov_b32 s1, 0x3fedd6d0
	v_add_f64 v[112:113], v[66:67], v[78:79]
	v_add_f64 v[128:129], v[60:61], v[80:81]
	s_mov_b32 s10, 0x75d4884
	s_mov_b32 s11, 0x3fe7a5f6
	v_add_f64 v[130:131], v[62:63], v[82:83]
	s_mov_b32 s8, 0x3259b75e
	s_mov_b32 s9, 0x3fb79ee6
	;; [unrolled: 1-line block ×20, first 2 shown]
	v_mul_f64 v[2:3], v[2:3], s[36:37]
	s_mov_b32 s43, 0x3fd71e95
	s_mov_b32 s42, s34
	v_mul_f64 v[0:1], v[0:1], s[36:37]
	v_add_f64 v[158:159], v[68:69], v[56:57]
	v_add_f64 v[160:161], v[70:71], v[58:59]
	s_mov_b32 s47, 0x3fc7851a
	s_mov_b32 s46, s36
	v_fma_f64 v[100:101], v[110:111], s[20:21], -v[2:3]
	v_fma_f64 v[2:3], v[110:111], s[20:21], v[2:3]
	v_add_f64 v[181:182], v[72:73], v[48:49]
	v_fma_f64 v[102:103], v[112:113], s[20:21], v[0:1]
	v_fma_f64 v[0:1], v[112:113], s[20:21], -v[0:1]
	v_add_f64 v[183:184], v[74:75], v[50:51]
	v_fma_f64 v[4:5], v[110:111], s[0:1], v[4:5]
	s_mov_b32 s51, 0x3fe9895b
	v_add_f64 v[100:101], v[20:21], v[100:101]
	v_add_f64 v[2:3], v[20:21], v[2:3]
	s_mov_b32 s50, s26
	v_add_f64 v[102:103], v[22:23], v[102:103]
	v_add_f64 v[0:1], v[22:23], v[0:1]
	v_add_f64 v[118:119], v[86:87], -v[38:39]
	v_add_f64 v[4:5], v[20:21], v[4:5]
	v_add_f64 v[213:214], v[36:37], v[84:85]
	;; [unrolled: 1-line block ×3, first 2 shown]
	v_add_f64 v[126:127], v[54:55], -v[34:35]
	v_add_f64 v[239:240], v[32:33], v[52:53]
	v_add_f64 v[243:244], v[34:35], v[54:55]
	v_add_f64 v[162:163], v[26:27], -v[46:47]
	v_fma_f64 v[6:7], v[112:113], s[0:1], -v[6:7]
	v_fma_f64 v[8:9], v[110:111], s[10:11], v[8:9]
	v_fma_f64 v[10:11], v[112:113], s[10:11], -v[10:11]
	v_fma_f64 v[12:13], v[110:111], s[4:5], v[12:13]
	;; [unrolled: 2-line block ×4, first 2 shown]
	v_add_f64 v[6:7], v[22:23], v[6:7]
	v_add_f64 v[8:9], v[20:21], v[8:9]
	v_add_f64 v[10:11], v[22:23], v[10:11]
	v_add_f64 v[12:13], v[20:21], v[12:13]
	v_add_f64 v[14:15], v[22:23], v[14:15]
	v_add_f64 v[16:17], v[20:21], v[16:17]
	v_fma_f64 v[108:109], v[128:129], s[10:11], v[108:109]
	v_add_f64 v[18:19], v[22:23], v[18:19]
	v_add_f64 v[88:89], v[20:21], v[88:89]
	v_fma_f64 v[90:91], v[112:113], s[18:19], -v[90:91]
	v_fma_f64 v[92:93], v[110:111], s[22:23], v[92:93]
	v_fma_f64 v[94:95], v[112:113], s[22:23], -v[94:95]
	v_fma_f64 v[96:97], v[110:111], s[16:17], v[96:97]
	v_fma_f64 v[98:99], v[112:113], s[16:17], -v[98:99]
	v_add_f64 v[4:5], v[108:109], v[4:5]
	v_fma_f64 v[108:109], v[130:131], s[10:11], -v[114:115]
	v_mul_f64 v[114:115], v[104:105], s[38:39]
	v_add_f64 v[90:91], v[22:23], v[90:91]
	v_add_f64 v[92:93], v[20:21], v[92:93]
	;; [unrolled: 1-line block ×5, first 2 shown]
	v_mul_f64 v[148:149], v[118:119], s[34:35]
	v_add_f64 v[6:7], v[108:109], v[6:7]
	v_mul_f64 v[108:109], v[106:107], s[38:39]
	buffer_store_dword v108, off, s[64:67], 0 offset:200 ; 4-byte Folded Spill
	s_nop 0
	buffer_store_dword v109, off, s[64:67], 0 offset:204 ; 4-byte Folded Spill
	buffer_store_dword v114, off, s[64:67], 0 offset:256 ; 4-byte Folded Spill
	s_nop 0
	buffer_store_dword v115, off, s[64:67], 0 offset:260 ; 4-byte Folded Spill
	v_mul_f64 v[237:238], v[126:127], s[26:27]
	v_mul_f64 v[249:250], v[126:127], s[48:49]
	;; [unrolled: 1-line block ×5, first 2 shown]
	v_add_f64 v[156:157], v[24:25], -v[44:45]
	v_add_f64 v[134:135], v[26:27], v[46:47]
	v_mul_f64 v[185:186], v[162:163], s[50:51]
	v_mul_f64 v[199:200], v[162:163], s[34:35]
	;; [unrolled: 1-line block ×3, first 2 shown]
	v_add_f64 v[233:234], v[30:31], -v[42:43]
	v_add_f64 v[227:228], v[28:29], -v[40:41]
	v_mul_f64 v[144:145], v[156:157], s[28:29]
	v_mul_f64 v[176:177], v[156:157], s[38:39]
	;; [unrolled: 1-line block ×14, first 2 shown]
	v_fma_f64 v[108:109], v[128:129], s[8:9], v[108:109]
	v_add_f64 v[8:9], v[108:109], v[8:9]
	v_fma_f64 v[108:109], v[130:131], s[8:9], -v[114:115]
	v_mul_f64 v[114:115], v[104:105], s[26:27]
	v_add_f64 v[10:11], v[108:109], v[10:11]
	v_mul_f64 v[108:109], v[106:107], s[26:27]
	buffer_store_dword v108, off, s[64:67], 0 offset:280 ; 4-byte Folded Spill
	s_nop 0
	buffer_store_dword v109, off, s[64:67], 0 offset:284 ; 4-byte Folded Spill
	buffer_store_dword v114, off, s[64:67], 0 offset:344 ; 4-byte Folded Spill
	s_nop 0
	buffer_store_dword v115, off, s[64:67], 0 offset:348 ; 4-byte Folded Spill
	v_fma_f64 v[108:109], v[128:129], s[22:23], v[108:109]
	v_add_f64 v[12:13], v[108:109], v[12:13]
	v_fma_f64 v[108:109], v[130:131], s[22:23], -v[114:115]
	v_mul_f64 v[114:115], v[104:105], s[36:37]
	v_add_f64 v[14:15], v[108:109], v[14:15]
	v_mul_f64 v[108:109], v[106:107], s[36:37]
	buffer_store_dword v108, off, s[64:67], 0 offset:368 ; 4-byte Folded Spill
	s_nop 0
	buffer_store_dword v109, off, s[64:67], 0 offset:372 ; 4-byte Folded Spill
	buffer_store_dword v114, off, s[64:67], 0 offset:376 ; 4-byte Folded Spill
	s_nop 0
	buffer_store_dword v115, off, s[64:67], 0 offset:380 ; 4-byte Folded Spill
	;; [unrolled: 12-line block ×4, first 2 shown]
	v_fma_f64 v[108:109], v[128:129], s[18:19], v[108:109]
	v_add_f64 v[92:93], v[108:109], v[92:93]
	v_fma_f64 v[108:109], v[130:131], s[18:19], -v[114:115]
	v_mul_f64 v[114:115], v[104:105], s[28:29]
	v_mul_f64 v[104:105], v[104:105], s[42:43]
	v_add_f64 v[94:95], v[108:109], v[94:95]
	v_mul_f64 v[108:109], v[106:107], s[28:29]
	buffer_store_dword v108, off, s[64:67], 0 offset:472 ; 4-byte Folded Spill
	s_nop 0
	buffer_store_dword v109, off, s[64:67], 0 offset:476 ; 4-byte Folded Spill
	buffer_store_dword v114, off, s[64:67], 0 offset:480 ; 4-byte Folded Spill
	s_nop 0
	buffer_store_dword v115, off, s[64:67], 0 offset:484 ; 4-byte Folded Spill
	v_mul_f64 v[106:107], v[106:107], s[42:43]
	v_fma_f64 v[108:109], v[128:129], s[4:5], v[108:109]
	v_add_f64 v[96:97], v[108:109], v[96:97]
	v_fma_f64 v[108:109], v[130:131], s[4:5], -v[114:115]
	v_add_f64 v[98:99], v[108:109], v[98:99]
	v_fma_f64 v[108:109], v[128:129], s[0:1], -v[106:107]
	v_fma_f64 v[106:107], v[128:129], s[0:1], v[106:107]
	v_add_f64 v[100:101], v[108:109], v[100:101]
	v_fma_f64 v[108:109], v[130:131], s[0:1], v[104:105]
	v_add_f64 v[2:3], v[106:107], v[2:3]
	v_fma_f64 v[104:105], v[130:131], s[0:1], -v[104:105]
	v_add_f64 v[106:107], v[70:71], -v[58:59]
	v_add_f64 v[102:103], v[108:109], v[102:103]
	v_add_f64 v[0:1], v[104:105], v[0:1]
	v_add_f64 v[104:105], v[68:69], -v[56:57]
	v_mul_f64 v[108:109], v[106:107], s[44:45]
	buffer_store_dword v108, off, s[64:67], 0 offset:296 ; 4-byte Folded Spill
	s_nop 0
	buffer_store_dword v109, off, s[64:67], 0 offset:300 ; 4-byte Folded Spill
	v_mul_f64 v[114:115], v[104:105], s[44:45]
	buffer_store_dword v114, off, s[64:67], 0 offset:304 ; 4-byte Folded Spill
	s_nop 0
	buffer_store_dword v115, off, s[64:67], 0 offset:308 ; 4-byte Folded Spill
	v_fma_f64 v[108:109], v[158:159], s[4:5], v[108:109]
	v_add_f64 v[4:5], v[108:109], v[4:5]
	v_fma_f64 v[108:109], v[160:161], s[4:5], -v[114:115]
	v_mul_f64 v[114:115], v[104:105], s[26:27]
	v_add_f64 v[6:7], v[108:109], v[6:7]
	v_mul_f64 v[108:109], v[106:107], s[26:27]
	buffer_store_dword v108, off, s[64:67], 0 offset:320 ; 4-byte Folded Spill
	s_nop 0
	buffer_store_dword v109, off, s[64:67], 0 offset:324 ; 4-byte Folded Spill
	buffer_store_dword v114, off, s[64:67], 0 offset:384 ; 4-byte Folded Spill
	s_nop 0
	buffer_store_dword v115, off, s[64:67], 0 offset:388 ; 4-byte Folded Spill
	v_fma_f64 v[108:109], v[158:159], s[22:23], v[108:109]
	v_add_f64 v[8:9], v[108:109], v[8:9]
	v_fma_f64 v[108:109], v[160:161], s[22:23], -v[114:115]
	v_mul_f64 v[114:115], v[104:105], s[46:47]
	v_add_f64 v[10:11], v[108:109], v[10:11]
	v_mul_f64 v[108:109], v[106:107], s[46:47]
	buffer_store_dword v108, off, s[64:67], 0 offset:400 ; 4-byte Folded Spill
	s_nop 0
	buffer_store_dword v109, off, s[64:67], 0 offset:404 ; 4-byte Folded Spill
	buffer_store_dword v114, off, s[64:67], 0 offset:456 ; 4-byte Folded Spill
	s_nop 0
	buffer_store_dword v115, off, s[64:67], 0 offset:460 ; 4-byte Folded Spill
	s_mov_b32 s47, 0x3fe58eea
	s_mov_b32 s46, s40
	v_mul_f64 v[247:248], v[118:119], s[46:47]
	v_mul_f64 v[207:208], v[162:163], s[46:47]
	;; [unrolled: 1-line block ×5, first 2 shown]
	v_fma_f64 v[108:109], v[158:159], s[20:21], v[108:109]
	v_add_f64 v[12:13], v[108:109], v[12:13]
	v_fma_f64 v[108:109], v[160:161], s[20:21], -v[114:115]
	v_mul_f64 v[114:115], v[104:105], s[48:49]
	v_add_f64 v[14:15], v[108:109], v[14:15]
	v_mul_f64 v[108:109], v[106:107], s[48:49]
	buffer_store_dword v108, off, s[64:67], 0 offset:464 ; 4-byte Folded Spill
	s_nop 0
	buffer_store_dword v109, off, s[64:67], 0 offset:468 ; 4-byte Folded Spill
	buffer_store_dword v114, off, s[64:67], 0 offset:488 ; 4-byte Folded Spill
	s_nop 0
	buffer_store_dword v115, off, s[64:67], 0 offset:492 ; 4-byte Folded Spill
	v_fma_f64 v[108:109], v[158:159], s[18:19], v[108:109]
	v_add_f64 v[16:17], v[108:109], v[16:17]
	v_fma_f64 v[108:109], v[160:161], s[18:19], -v[114:115]
	v_mul_f64 v[114:115], v[104:105], s[46:47]
	v_add_f64 v[18:19], v[108:109], v[18:19]
	v_mul_f64 v[108:109], v[106:107], s[46:47]
	buffer_store_dword v108, off, s[64:67], 0 offset:504 ; 4-byte Folded Spill
	s_nop 0
	buffer_store_dword v109, off, s[64:67], 0 offset:508 ; 4-byte Folded Spill
	buffer_store_dword v114, off, s[64:67], 0 offset:512 ; 4-byte Folded Spill
	s_nop 0
	buffer_store_dword v115, off, s[64:67], 0 offset:516 ; 4-byte Folded Spill
	;; [unrolled: 12-line block ×3, first 2 shown]
	v_fma_f64 v[108:109], v[158:159], s[0:1], v[108:109]
	v_add_f64 v[92:93], v[108:109], v[92:93]
	v_fma_f64 v[108:109], v[160:161], s[0:1], -v[114:115]
	v_mul_f64 v[114:115], v[104:105], s[38:39]
	v_mul_f64 v[104:105], v[104:105], s[30:31]
	v_add_f64 v[94:95], v[108:109], v[94:95]
	v_mul_f64 v[108:109], v[106:107], s[38:39]
	buffer_store_dword v108, off, s[64:67], 0 offset:576 ; 4-byte Folded Spill
	s_nop 0
	buffer_store_dword v109, off, s[64:67], 0 offset:580 ; 4-byte Folded Spill
	buffer_store_dword v114, off, s[64:67], 0 offset:584 ; 4-byte Folded Spill
	s_nop 0
	buffer_store_dword v115, off, s[64:67], 0 offset:588 ; 4-byte Folded Spill
	v_mul_f64 v[106:107], v[106:107], s[30:31]
	v_fma_f64 v[108:109], v[158:159], s[8:9], v[108:109]
	v_add_f64 v[96:97], v[108:109], v[96:97]
	v_fma_f64 v[108:109], v[160:161], s[8:9], -v[114:115]
	v_add_f64 v[98:99], v[108:109], v[98:99]
	v_fma_f64 v[108:109], v[158:159], s[16:17], -v[106:107]
	v_fma_f64 v[106:107], v[158:159], s[16:17], v[106:107]
	v_add_f64 v[100:101], v[108:109], v[100:101]
	v_fma_f64 v[108:109], v[160:161], s[16:17], v[104:105]
	v_fma_f64 v[104:105], v[160:161], s[16:17], -v[104:105]
	v_add_f64 v[2:3], v[106:107], v[2:3]
	v_add_f64 v[106:107], v[72:73], -v[48:49]
	v_add_f64 v[102:103], v[108:109], v[102:103]
	v_add_f64 v[108:109], v[74:75], -v[50:51]
	v_add_f64 v[0:1], v[104:105], v[0:1]
	v_mul_f64 v[114:115], v[106:107], s[38:39]
	v_mul_f64 v[235:236], v[106:107], s[44:45]
	;; [unrolled: 1-line block ×4, first 2 shown]
	buffer_store_dword v104, off, s[64:67], 0 offset:416 ; 4-byte Folded Spill
	s_nop 0
	buffer_store_dword v105, off, s[64:67], 0 offset:420 ; 4-byte Folded Spill
	buffer_store_dword v114, off, s[64:67], 0 offset:424 ; 4-byte Folded Spill
	s_nop 0
	buffer_store_dword v115, off, s[64:67], 0 offset:428 ; 4-byte Folded Spill
	v_mul_f64 v[245:246], v[108:109], s[30:31]
	v_fma_f64 v[104:105], v[181:182], s[8:9], v[104:105]
	v_add_f64 v[4:5], v[104:105], v[4:5]
	v_fma_f64 v[104:105], v[183:184], s[8:9], -v[114:115]
	v_mul_f64 v[114:115], v[106:107], s[36:37]
	v_add_f64 v[6:7], v[104:105], v[6:7]
	v_mul_f64 v[104:105], v[108:109], s[36:37]
	buffer_store_dword v104, off, s[64:67], 0 offset:432 ; 4-byte Folded Spill
	s_nop 0
	buffer_store_dword v105, off, s[64:67], 0 offset:436 ; 4-byte Folded Spill
	buffer_store_dword v114, off, s[64:67], 0 offset:496 ; 4-byte Folded Spill
	s_nop 0
	buffer_store_dword v115, off, s[64:67], 0 offset:500 ; 4-byte Folded Spill
	v_fma_f64 v[104:105], v[181:182], s[20:21], v[104:105]
	v_add_f64 v[8:9], v[104:105], v[8:9]
	v_fma_f64 v[104:105], v[183:184], s[20:21], -v[114:115]
	v_mul_f64 v[114:115], v[106:107], s[48:49]
	v_add_f64 v[10:11], v[104:105], v[10:11]
	v_mul_f64 v[104:105], v[108:109], s[48:49]
	buffer_store_dword v104, off, s[64:67], 0 offset:544 ; 4-byte Folded Spill
	s_nop 0
	buffer_store_dword v105, off, s[64:67], 0 offset:548 ; 4-byte Folded Spill
	buffer_store_dword v114, off, s[64:67], 0 offset:568 ; 4-byte Folded Spill
	s_nop 0
	buffer_store_dword v115, off, s[64:67], 0 offset:572 ; 4-byte Folded Spill
	v_fma_f64 v[104:105], v[181:182], s[18:19], v[104:105]
	v_add_f64 v[12:13], v[104:105], v[12:13]
	v_fma_f64 v[104:105], v[183:184], s[18:19], -v[114:115]
	v_mul_f64 v[114:115], v[106:107], s[42:43]
	v_add_f64 v[14:15], v[104:105], v[14:15]
	v_mul_f64 v[104:105], v[108:109], s[42:43]
	buffer_store_dword v104, off, s[64:67], 0 offset:592 ; 4-byte Folded Spill
	s_nop 0
	buffer_store_dword v105, off, s[64:67], 0 offset:596 ; 4-byte Folded Spill
	buffer_store_dword v114, off, s[64:67], 0 offset:608 ; 4-byte Folded Spill
	s_nop 0
	buffer_store_dword v115, off, s[64:67], 0 offset:612 ; 4-byte Folded Spill
	v_fma_f64 v[104:105], v[181:182], s[0:1], v[104:105]
	v_add_f64 v[16:17], v[104:105], v[16:17]
	v_fma_f64 v[104:105], v[183:184], s[0:1], -v[114:115]
	v_mul_f64 v[114:115], v[106:107], s[50:51]
	v_mul_f64 v[106:107], v[106:107], s[46:47]
	v_add_f64 v[18:19], v[104:105], v[18:19]
	v_mul_f64 v[104:105], v[108:109], s[44:45]
	buffer_store_dword v104, off, s[64:67], 0 offset:616 ; 4-byte Folded Spill
	s_nop 0
	buffer_store_dword v105, off, s[64:67], 0 offset:620 ; 4-byte Folded Spill
	v_fma_f64 v[104:105], v[181:182], s[4:5], v[104:105]
	v_add_f64 v[88:89], v[104:105], v[88:89]
	v_fma_f64 v[104:105], v[183:184], s[4:5], -v[235:236]
	v_add_f64 v[90:91], v[104:105], v[90:91]
	v_fma_f64 v[104:105], v[181:182], s[16:17], v[245:246]
	v_add_f64 v[92:93], v[104:105], v[92:93]
	v_fma_f64 v[104:105], v[183:184], s[16:17], -v[251:252]
	v_add_f64 v[94:95], v[104:105], v[94:95]
	v_mul_f64 v[104:105], v[108:109], s[50:51]
	v_mul_f64 v[108:109], v[108:109], s[46:47]
	v_fma_f64 v[116:117], v[181:182], s[22:23], v[104:105]
	v_add_f64 v[96:97], v[116:117], v[96:97]
	v_fma_f64 v[116:117], v[183:184], s[22:23], -v[114:115]
	v_add_f64 v[98:99], v[116:117], v[98:99]
	v_fma_f64 v[116:117], v[181:182], s[10:11], -v[108:109]
	v_fma_f64 v[108:109], v[181:182], s[10:11], v[108:109]
	v_add_f64 v[100:101], v[116:117], v[100:101]
	v_fma_f64 v[116:117], v[183:184], s[10:11], v[106:107]
	v_fma_f64 v[106:107], v[183:184], s[10:11], -v[106:107]
	v_add_f64 v[2:3], v[108:109], v[2:3]
	v_add_f64 v[108:109], v[84:85], -v[36:37]
	v_add_f64 v[102:103], v[116:117], v[102:103]
	v_add_f64 v[0:1], v[106:107], v[0:1]
	v_mul_f64 v[106:107], v[118:119], s[24:25]
	v_mul_f64 v[116:117], v[108:109], s[24:25]
	buffer_store_dword v106, off, s[64:67], 0 offset:520 ; 4-byte Folded Spill
	s_nop 0
	buffer_store_dword v107, off, s[64:67], 0 offset:524 ; 4-byte Folded Spill
	buffer_store_dword v116, off, s[64:67], 0 offset:528 ; 4-byte Folded Spill
	s_nop 0
	buffer_store_dword v117, off, s[64:67], 0 offset:532 ; 4-byte Folded Spill
	v_mul_f64 v[253:254], v[108:109], s[46:47]
	v_mul_f64 v[122:123], v[108:109], s[36:37]
	;; [unrolled: 1-line block ×3, first 2 shown]
	v_fma_f64 v[106:107], v[213:214], s[18:19], v[106:107]
	v_add_f64 v[4:5], v[106:107], v[4:5]
	v_fma_f64 v[106:107], v[215:216], s[18:19], -v[116:117]
	v_mul_f64 v[116:117], v[108:109], s[52:53]
	v_add_f64 v[6:7], v[106:107], v[6:7]
	v_mul_f64 v[106:107], v[118:119], s[52:53]
	buffer_store_dword v106, off, s[64:67], 0 offset:552 ; 4-byte Folded Spill
	s_nop 0
	buffer_store_dword v107, off, s[64:67], 0 offset:556 ; 4-byte Folded Spill
	buffer_store_dword v116, off, s[64:67], 0 offset:600 ; 4-byte Folded Spill
	s_nop 0
	buffer_store_dword v117, off, s[64:67], 0 offset:604 ; 4-byte Folded Spill
	v_fma_f64 v[106:107], v[213:214], s[16:17], v[106:107]
	v_add_f64 v[8:9], v[106:107], v[8:9]
	v_fma_f64 v[106:107], v[215:216], s[16:17], -v[116:117]
	v_mul_f64 v[116:117], v[108:109], s[44:45]
	v_add_f64 v[10:11], v[106:107], v[10:11]
	v_fma_f64 v[106:107], v[213:214], s[10:11], v[247:248]
	v_add_f64 v[12:13], v[106:107], v[12:13]
	v_fma_f64 v[106:107], v[215:216], s[10:11], -v[253:254]
	v_add_f64 v[14:15], v[106:107], v[14:15]
	v_mul_f64 v[106:107], v[118:119], s[44:45]
	s_mov_b32 s45, 0x3fefdd0d
	s_mov_b32 s44, s38
	v_mul_f64 v[138:139], v[118:119], s[44:45]
	v_mul_f64 v[140:141], v[108:109], s[44:45]
	v_mul_f64 v[108:109], v[108:109], s[26:27]
	v_mul_f64 v[164:165], v[126:127], s[44:45]
	v_fma_f64 v[120:121], v[213:214], s[4:5], v[106:107]
	v_add_f64 v[16:17], v[120:121], v[16:17]
	v_fma_f64 v[120:121], v[215:216], s[4:5], -v[116:117]
	v_add_f64 v[18:19], v[120:121], v[18:19]
	v_mul_f64 v[120:121], v[118:119], s[36:37]
	v_mul_f64 v[118:119], v[118:119], s[26:27]
	v_fma_f64 v[124:125], v[213:214], s[20:21], v[120:121]
	v_add_f64 v[88:89], v[124:125], v[88:89]
	v_fma_f64 v[124:125], v[215:216], s[20:21], -v[122:123]
	v_add_f64 v[90:91], v[124:125], v[90:91]
	v_fma_f64 v[124:125], v[213:214], s[8:9], v[138:139]
	v_add_f64 v[92:93], v[124:125], v[92:93]
	v_fma_f64 v[124:125], v[215:216], s[8:9], -v[140:141]
	v_add_f64 v[94:95], v[124:125], v[94:95]
	;; [unrolled: 4-line block ×3, first 2 shown]
	v_fma_f64 v[124:125], v[213:214], s[22:23], -v[118:119]
	v_fma_f64 v[118:119], v[213:214], s[22:23], v[118:119]
	v_add_f64 v[100:101], v[124:125], v[100:101]
	v_fma_f64 v[124:125], v[215:216], s[22:23], v[108:109]
	v_fma_f64 v[108:109], v[215:216], s[22:23], -v[108:109]
	v_add_f64 v[2:3], v[118:119], v[2:3]
	v_add_f64 v[102:103], v[124:125], v[102:103]
	v_add_f64 v[124:125], v[52:53], -v[32:33]
	v_add_f64 v[0:1], v[108:109], v[0:1]
	v_fma_f64 v[108:109], v[239:240], s[22:23], v[237:238]
	v_mul_f64 v[241:242], v[124:125], s[26:27]
	v_mul_f64 v[118:119], v[124:125], s[48:49]
	v_add_f64 v[4:5], v[108:109], v[4:5]
	v_mul_f64 v[142:143], v[124:125], s[34:35]
	v_mul_f64 v[154:155], v[124:125], s[30:31]
	;; [unrolled: 1-line block ×5, first 2 shown]
	v_fma_f64 v[108:109], v[243:244], s[22:23], -v[241:242]
	v_mul_f64 v[124:125], v[124:125], s[28:29]
	v_add_f64 v[6:7], v[108:109], v[6:7]
	v_fma_f64 v[108:109], v[239:240], s[18:19], v[249:250]
	v_add_f64 v[8:9], v[108:109], v[8:9]
	v_fma_f64 v[108:109], v[243:244], s[18:19], -v[118:119]
	v_add_f64 v[10:11], v[108:109], v[10:11]
	v_mul_f64 v[108:109], v[126:127], s[34:35]
	v_mul_f64 v[126:127], v[126:127], s[28:29]
	v_fma_f64 v[132:133], v[239:240], s[0:1], v[108:109]
	v_add_f64 v[12:13], v[132:133], v[12:13]
	v_fma_f64 v[132:133], v[243:244], s[0:1], -v[142:143]
	v_add_f64 v[14:15], v[132:133], v[14:15]
	v_fma_f64 v[132:133], v[239:240], s[16:17], v[152:153]
	v_add_f64 v[16:17], v[132:133], v[16:17]
	v_fma_f64 v[132:133], v[243:244], s[16:17], -v[154:155]
	v_add_f64 v[18:19], v[132:133], v[18:19]
	;; [unrolled: 4-line block ×5, first 2 shown]
	v_fma_f64 v[132:133], v[239:240], s[4:5], -v[126:127]
	v_fma_f64 v[126:127], v[239:240], s[4:5], v[126:127]
	v_add_f64 v[100:101], v[132:133], v[100:101]
	v_fma_f64 v[132:133], v[243:244], s[4:5], v[124:125]
	v_fma_f64 v[124:125], v[243:244], s[4:5], -v[124:125]
	v_add_f64 v[2:3], v[126:127], v[2:3]
	v_mul_f64 v[126:127], v[156:157], s[30:31]
	v_mul_f64 v[156:157], v[156:157], s[24:25]
	v_add_f64 v[102:103], v[132:133], v[102:103]
	v_add_f64 v[0:1], v[124:125], v[0:1]
	;; [unrolled: 1-line block ×3, first 2 shown]
	v_mul_f64 v[124:125], v[162:163], s[30:31]
	v_fma_f64 v[136:137], v[132:133], s[16:17], v[124:125]
	v_add_f64 v[4:5], v[136:137], v[4:5]
	v_fma_f64 v[136:137], v[134:135], s[16:17], -v[126:127]
	v_add_f64 v[6:7], v[136:137], v[6:7]
	v_mul_f64 v[136:137], v[162:163], s[28:29]
	v_fma_f64 v[146:147], v[132:133], s[4:5], v[136:137]
	v_add_f64 v[8:9], v[146:147], v[8:9]
	v_fma_f64 v[146:147], v[134:135], s[4:5], -v[144:145]
	v_add_f64 v[10:11], v[146:147], v[10:11]
	v_mul_f64 v[146:147], v[162:163], s[38:39]
	v_mul_f64 v[162:163], v[162:163], s[24:25]
	v_fma_f64 v[166:167], v[132:133], s[8:9], v[146:147]
	v_add_f64 v[12:13], v[166:167], v[12:13]
	v_fma_f64 v[166:167], v[134:135], s[8:9], -v[176:177]
	v_add_f64 v[14:15], v[166:167], v[14:15]
	v_fma_f64 v[166:167], v[132:133], s[22:23], v[185:186]
	v_add_f64 v[16:17], v[166:167], v[16:17]
	v_fma_f64 v[166:167], v[134:135], s[22:23], -v[193:194]
	v_add_f64 v[18:19], v[166:167], v[18:19]
	;; [unrolled: 4-line block ×3, first 2 shown]
	v_fma_f64 v[166:167], v[132:133], s[20:21], v[203:204]
	v_add_f64 v[229:230], v[166:167], v[92:93]
	v_fma_f64 v[92:93], v[134:135], s[20:21], -v[205:206]
	v_mul_f64 v[166:167], v[233:234], s[36:37]
	v_add_f64 v[231:232], v[92:93], v[94:95]
	v_fma_f64 v[92:93], v[132:133], s[10:11], v[207:208]
	v_fma_f64 v[94:95], v[134:135], s[18:19], v[156:157]
	v_add_f64 v[96:97], v[92:93], v[96:97]
	v_fma_f64 v[92:93], v[134:135], s[10:11], -v[209:210]
	v_add_f64 v[94:95], v[94:95], v[102:103]
	v_add_f64 v[98:99], v[92:93], v[98:99]
	v_fma_f64 v[92:93], v[132:133], s[18:19], -v[162:163]
	v_add_f64 v[92:93], v[92:93], v[100:101]
	v_fma_f64 v[100:101], v[132:133], s[18:19], v[162:163]
	v_add_f64 v[162:163], v[30:31], v[42:43]
	v_add_f64 v[100:101], v[100:101], v[2:3]
	v_fma_f64 v[2:3], v[134:135], s[18:19], -v[156:157]
	v_add_f64 v[156:157], v[28:29], v[40:41]
	v_add_f64 v[102:103], v[2:3], v[0:1]
	v_fma_f64 v[0:1], v[156:157], s[20:21], v[166:167]
	v_add_f64 v[2:3], v[0:1], v[4:5]
	v_fma_f64 v[0:1], v[162:163], s[20:21], -v[168:169]
	v_add_f64 v[4:5], v[0:1], v[6:7]
	v_fma_f64 v[0:1], v[156:157], s[0:1], v[172:173]
	v_add_f64 v[6:7], v[0:1], v[8:9]
	v_fma_f64 v[0:1], v[162:163], s[0:1], -v[187:188]
	v_add_f64 v[8:9], v[0:1], v[10:11]
	v_fma_f64 v[0:1], v[156:157], s[16:17], v[191:192]
	buffer_store_dword v6, off, s[64:67], 0 offset:4 ; 4-byte Folded Spill
	s_nop 0
	buffer_store_dword v7, off, s[64:67], 0 offset:8 ; 4-byte Folded Spill
	buffer_store_dword v8, off, s[64:67], 0 offset:12 ; 4-byte Folded Spill
	;; [unrolled: 1-line block ×3, first 2 shown]
	v_add_f64 v[6:7], v[0:1], v[12:13]
	v_fma_f64 v[0:1], v[162:163], s[16:17], -v[195:196]
	v_add_f64 v[8:9], v[0:1], v[14:15]
	v_fma_f64 v[0:1], v[156:157], s[10:11], v[211:212]
	buffer_store_dword v6, off, s[64:67], 0 offset:20 ; 4-byte Folded Spill
	s_nop 0
	buffer_store_dword v7, off, s[64:67], 0 offset:24 ; 4-byte Folded Spill
	buffer_store_dword v8, off, s[64:67], 0 offset:28 ; 4-byte Folded Spill
	;; [unrolled: 1-line block ×3, first 2 shown]
	v_add_f64 v[6:7], v[0:1], v[16:17]
	v_fma_f64 v[0:1], v[162:163], s[10:11], -v[217:218]
	v_add_f64 v[8:9], v[0:1], v[18:19]
	v_fma_f64 v[0:1], v[156:157], s[22:23], v[219:220]
	v_mov_b32_e32 v19, v5
	v_mov_b32_e32 v18, v4
	;; [unrolled: 1-line block ×4, first 2 shown]
	buffer_store_dword v6, off, s[64:67], 0 offset:36 ; 4-byte Folded Spill
	s_nop 0
	buffer_store_dword v7, off, s[64:67], 0 offset:40 ; 4-byte Folded Spill
	buffer_store_dword v8, off, s[64:67], 0 offset:44 ; 4-byte Folded Spill
	;; [unrolled: 1-line block ×3, first 2 shown]
	v_add_f64 v[2:3], v[0:1], v[88:89]
	v_fma_f64 v[0:1], v[162:163], s[22:23], -v[221:222]
	v_add_f64 v[4:5], v[0:1], v[90:91]
	v_fma_f64 v[0:1], v[156:157], s[4:5], v[223:224]
	buffer_store_dword v2, off, s[64:67], 0 offset:52 ; 4-byte Folded Spill
	s_nop 0
	buffer_store_dword v3, off, s[64:67], 0 offset:56 ; 4-byte Folded Spill
	buffer_store_dword v4, off, s[64:67], 0 offset:60 ; 4-byte Folded Spill
	;; [unrolled: 1-line block ×3, first 2 shown]
	v_add_f64 v[88:89], v[0:1], v[229:230]
	v_fma_f64 v[0:1], v[162:163], s[4:5], -v[225:226]
	v_mul_f64 v[229:230], v[233:234], s[24:25]
	s_waitcnt vmcnt(0) lgkmcnt(0)
	s_barrier
	v_add_f64 v[90:91], v[0:1], v[231:232]
	v_mul_f64 v[231:232], v[227:228], s[24:25]
	v_fma_f64 v[0:1], v[156:157], s[18:19], v[229:230]
	v_add_f64 v[96:97], v[0:1], v[96:97]
	v_fma_f64 v[0:1], v[162:163], s[18:19], -v[231:232]
	v_add_f64 v[98:99], v[0:1], v[98:99]
	v_mul_f64 v[0:1], v[233:234], s[44:45]
	v_fma_f64 v[2:3], v[156:157], s[8:9], -v[0:1]
	v_fma_f64 v[0:1], v[156:157], s[8:9], v[0:1]
	v_add_f64 v[92:93], v[2:3], v[92:93]
	v_mul_f64 v[2:3], v[227:228], s[44:45]
	v_add_f64 v[100:101], v[0:1], v[100:101]
	v_fma_f64 v[0:1], v[162:163], s[8:9], -v[2:3]
	v_fma_f64 v[4:5], v[162:163], s[8:9], v[2:3]
	v_add_f64 v[102:103], v[0:1], v[102:103]
	buffer_load_dword v0, off, s[64:67], 0  ; 4-byte Folded Reload
	v_add_f64 v[94:95], v[4:5], v[94:95]
	s_waitcnt vmcnt(0)
	v_mul_lo_u16_e32 v0, 17, v0
	buffer_store_dword v0, off, s[64:67], 0 offset:84 ; 4-byte Folded Spill
	s_and_saveexec_b64 s[24:25], vcc
	s_cbranch_execz .LBB0_7
; %bb.6:
	buffer_load_dword v12, off, s[64:67], 0 offset:584 ; 4-byte Folded Reload
	buffer_load_dword v13, off, s[64:67], 0 offset:588 ; 4-byte Folded Reload
	v_add_f64 v[0:1], v[22:23], v[78:79]
	v_add_f64 v[2:3], v[20:21], v[76:77]
	v_mul_f64 v[76:77], v[158:159], s[8:9]
	v_mul_f64 v[10:11], v[215:216], s[0:1]
	;; [unrolled: 1-line block ×4, first 2 shown]
	v_add_f64 v[0:1], v[82:83], v[0:1]
	v_add_f64 v[2:3], v[80:81], v[2:3]
	v_mul_f64 v[80:81], v[128:129], s[16:17]
	v_add_f64 v[10:11], v[150:151], v[10:11]
	v_add_f64 v[6:7], v[197:198], v[6:7]
	v_mul_f64 v[82:83], v[112:113], s[8:9]
	v_mul_f64 v[150:151], v[158:159], s[4:5]
	;; [unrolled: 1-line block ×3, first 2 shown]
	v_add_f64 v[0:1], v[70:71], v[0:1]
	v_mul_f64 v[70:71], v[160:161], s[8:9]
	v_add_f64 v[2:3], v[68:69], v[2:3]
	v_mul_f64 v[68:69], v[183:184], s[22:23]
	;; [unrolled: 2-line block ×7, first 2 shown]
	v_mul_f64 v[84:85], v[130:131], s[20:21]
	v_mul_f64 v[86:87], v[158:159], s[18:19]
	v_add_f64 v[4:5], v[54:55], v[4:5]
	v_add_f64 v[0:1], v[231:232], v[0:1]
	v_add_f64 v[54:55], v[197:198], -v[108:109]
	v_add_f64 v[2:3], v[209:210], v[2:3]
	v_add_f64 v[8:9], v[52:53], v[8:9]
	;; [unrolled: 1-line block ×10, first 2 shown]
	s_waitcnt vmcnt(0)
	v_add_f64 v[70:71], v[12:13], v[70:71]
	buffer_load_dword v12, off, s[64:67], 0 offset:480 ; 4-byte Folded Reload
	buffer_load_dword v13, off, s[64:67], 0 offset:484 ; 4-byte Folded Reload
	v_add_f64 v[4:5], v[34:35], v[4:5]
	v_add_f64 v[8:9], v[32:33], v[8:9]
	;; [unrolled: 1-line block ×10, first 2 shown]
	s_waitcnt vmcnt(0)
	v_add_f64 v[72:73], v[12:13], v[72:73]
	buffer_load_dword v12, off, s[64:67], 0 offset:360 ; 4-byte Folded Reload
	buffer_load_dword v13, off, s[64:67], 0 offset:364 ; 4-byte Folded Reload
	s_waitcnt vmcnt(0)
	v_add_f64 v[74:75], v[12:13], v[74:75]
	buffer_load_dword v12, off, s[64:67], 0 offset:576 ; 4-byte Folded Reload
	buffer_load_dword v13, off, s[64:67], 0 offset:580 ; 4-byte Folded Reload
	v_add_f64 v[74:75], v[22:23], v[74:75]
	v_add_f64 v[72:73], v[72:73], v[74:75]
	v_mul_f64 v[74:75], v[110:111], s[16:17]
	v_add_f64 v[70:71], v[70:71], v[72:73]
	v_mul_f64 v[72:73], v[128:129], s[4:5]
	;; [unrolled: 2-line block ×3, first 2 shown]
	v_add_f64 v[10:11], v[10:11], v[68:69]
	v_add_f64 v[70:71], v[70:71], -v[148:149]
	v_mul_f64 v[148:149], v[130:131], s[10:11]
	v_add_f64 v[6:7], v[6:7], v[10:11]
	v_add_f64 v[2:3], v[2:3], v[6:7]
	v_add_f64 v[2:3], v[0:1], v[2:3]
	s_waitcnt vmcnt(0)
	v_add_f64 v[76:77], v[76:77], -v[12:13]
	buffer_load_dword v12, off, s[64:67], 0 offset:352 ; 4-byte Folded Reload
	buffer_load_dword v13, off, s[64:67], 0 offset:356 ; 4-byte Folded Reload
	s_waitcnt vmcnt(0)
	v_add_f64 v[74:75], v[74:75], -v[12:13]
	buffer_load_dword v12, off, s[64:67], 0 offset:472 ; 4-byte Folded Reload
	buffer_load_dword v13, off, s[64:67], 0 offset:476 ; 4-byte Folded Reload
	v_add_f64 v[74:75], v[20:21], v[74:75]
	s_waitcnt vmcnt(0)
	v_add_f64 v[72:73], v[72:73], -v[12:13]
	v_add_f64 v[72:73], v[72:73], v[74:75]
	v_mul_f64 v[74:75], v[181:182], s[22:23]
	v_add_f64 v[72:73], v[76:77], v[72:73]
	v_add_f64 v[74:75], v[74:75], -v[104:105]
	v_mul_f64 v[76:77], v[130:131], s[16:17]
	v_mul_f64 v[104:105], v[110:111], s[8:9]
	v_add_f64 v[72:73], v[74:75], v[72:73]
	v_mul_f64 v[74:75], v[239:240], s[20:21]
	v_add_f64 v[68:69], v[70:71], v[72:73]
	v_add_f64 v[74:75], v[74:75], -v[189:190]
	v_mul_f64 v[70:71], v[132:133], s[10:11]
	v_mul_f64 v[72:73], v[128:129], s[18:19]
	;; [unrolled: 1-line block ×3, first 2 shown]
	v_add_f64 v[10:11], v[74:75], v[68:69]
	v_add_f64 v[70:71], v[70:71], -v[207:208]
	v_mul_f64 v[68:69], v[156:157], s[18:19]
	v_mul_f64 v[74:75], v[112:113], s[18:19]
	v_add_f64 v[38:39], v[241:242], v[189:190]
	v_add_f64 v[6:7], v[70:71], v[10:11]
	buffer_load_dword v10, off, s[64:67], 0 offset:560 ; 4-byte Folded Reload
	buffer_load_dword v11, off, s[64:67], 0 offset:564 ; 4-byte Folded Reload
	;; [unrolled: 1-line block ×4, first 2 shown]
	v_add_f64 v[68:69], v[68:69], -v[229:230]
	v_mul_f64 v[70:71], v[110:111], s[22:23]
	v_add_f64 v[0:1], v[68:69], v[6:7]
	v_mul_f64 v[6:7], v[160:161], s[0:1]
	v_mul_f64 v[68:69], v[130:131], s[18:19]
	s_waitcnt vmcnt(2)
	v_add_f64 v[6:7], v[10:11], v[6:7]
	v_mul_f64 v[10:11], v[112:113], s[22:23]
	s_waitcnt vmcnt(0)
	v_add_f64 v[10:11], v[12:13], v[10:11]
	buffer_load_dword v12, off, s[64:67], 0 offset:448 ; 4-byte Folded Reload
	buffer_load_dword v13, off, s[64:67], 0 offset:452 ; 4-byte Folded Reload
	v_add_f64 v[10:11], v[22:23], v[10:11]
	s_waitcnt vmcnt(0)
	v_add_f64 v[68:69], v[12:13], v[68:69]
	buffer_load_dword v12, off, s[64:67], 0 offset:536 ; 4-byte Folded Reload
	buffer_load_dword v13, off, s[64:67], 0 offset:540 ; 4-byte Folded Reload
	v_add_f64 v[10:11], v[68:69], v[10:11]
	v_mul_f64 v[68:69], v[183:184], s[16:17]
	v_add_f64 v[6:7], v[6:7], v[10:11]
	v_add_f64 v[68:69], v[251:252], v[68:69]
	v_mul_f64 v[10:11], v[215:216], s[8:9]
	v_add_f64 v[6:7], v[68:69], v[6:7]
	v_add_f64 v[10:11], v[140:141], v[10:11]
	v_mul_f64 v[68:69], v[243:244], s[10:11]
	v_mul_f64 v[140:141], v[134:135], s[8:9]
	v_add_f64 v[6:7], v[10:11], v[6:7]
	v_add_f64 v[68:69], v[178:179], v[68:69]
	v_mul_f64 v[10:11], v[134:135], s[20:21]
	v_add_f64 v[140:141], v[176:177], v[140:141]
	v_mul_f64 v[176:177], v[183:184], s[20:21]
	v_mul_f64 v[178:179], v[213:214], s[18:19]
	v_add_f64 v[6:7], v[68:69], v[6:7]
	v_add_f64 v[10:11], v[205:206], v[10:11]
	v_mul_f64 v[68:69], v[162:163], s[4:5]
	v_add_f64 v[6:7], v[10:11], v[6:7]
	v_mul_f64 v[10:11], v[158:159], s[0:1]
	v_add_f64 v[68:69], v[225:226], v[68:69]
	v_add_f64 v[6:7], v[68:69], v[6:7]
	s_waitcnt vmcnt(0)
	v_add_f64 v[10:11], v[10:11], -v[12:13]
	buffer_load_dword v12, off, s[64:67], 0 offset:288 ; 4-byte Folded Reload
	buffer_load_dword v13, off, s[64:67], 0 offset:292 ; 4-byte Folded Reload
	s_waitcnt vmcnt(0)
	v_add_f64 v[70:71], v[70:71], -v[12:13]
	buffer_load_dword v12, off, s[64:67], 0 offset:440 ; 4-byte Folded Reload
	buffer_load_dword v13, off, s[64:67], 0 offset:444 ; 4-byte Folded Reload
	v_add_f64 v[70:71], v[20:21], v[70:71]
	s_waitcnt vmcnt(0)
	v_add_f64 v[72:73], v[72:73], -v[12:13]
	buffer_load_dword v12, off, s[64:67], 0 offset:512 ; 4-byte Folded Reload
	buffer_load_dword v13, off, s[64:67], 0 offset:516 ; 4-byte Folded Reload
	v_add_f64 v[70:71], v[72:73], v[70:71]
	v_mul_f64 v[72:73], v[181:182], s[16:17]
	v_add_f64 v[10:11], v[10:11], v[70:71]
	v_add_f64 v[72:73], v[72:73], -v[245:246]
	v_mul_f64 v[70:71], v[213:214], s[8:9]
	v_add_f64 v[10:11], v[72:73], v[10:11]
	v_add_f64 v[70:71], v[70:71], -v[138:139]
	v_mul_f64 v[72:73], v[239:240], s[10:11]
	v_mul_f64 v[138:139], v[112:113], s[0:1]
	v_add_f64 v[10:11], v[70:71], v[10:11]
	v_add_f64 v[72:73], v[72:73], -v[174:175]
	v_mul_f64 v[70:71], v[132:133], s[20:21]
	;; [unrolled: 4-line block ×3, first 2 shown]
	v_add_f64 v[70:71], v[70:71], v[10:11]
	v_mul_f64 v[10:11], v[160:161], s[10:11]
	v_add_f64 v[72:73], v[72:73], -v[223:224]
	s_waitcnt vmcnt(0)
	v_add_f64 v[10:11], v[12:13], v[10:11]
	buffer_load_dword v12, off, s[64:67], 0 offset:272 ; 4-byte Folded Reload
	buffer_load_dword v13, off, s[64:67], 0 offset:276 ; 4-byte Folded Reload
	s_waitcnt vmcnt(0)
	v_add_f64 v[74:75], v[12:13], v[74:75]
	buffer_load_dword v12, off, s[64:67], 0 offset:408 ; 4-byte Folded Reload
	buffer_load_dword v13, off, s[64:67], 0 offset:412 ; 4-byte Folded Reload
	v_add_f64 v[74:75], v[22:23], v[74:75]
	s_waitcnt vmcnt(0)
	v_add_f64 v[76:77], v[12:13], v[76:77]
	buffer_load_dword v12, off, s[64:67], 0 offset:504 ; 4-byte Folded Reload
	buffer_load_dword v13, off, s[64:67], 0 offset:508 ; 4-byte Folded Reload
	v_add_f64 v[74:75], v[76:77], v[74:75]
	v_mul_f64 v[76:77], v[183:184], s[4:5]
	v_add_f64 v[10:11], v[10:11], v[74:75]
	v_add_f64 v[76:77], v[235:236], v[76:77]
	v_mul_f64 v[74:75], v[215:216], s[20:21]
	v_add_f64 v[10:11], v[76:77], v[10:11]
	v_add_f64 v[74:75], v[122:123], v[74:75]
	v_mul_f64 v[76:77], v[243:244], s[8:9]
	v_mul_f64 v[122:123], v[243:244], s[0:1]
	v_add_f64 v[10:11], v[74:75], v[10:11]
	v_add_f64 v[76:77], v[170:171], v[76:77]
	v_mul_f64 v[74:75], v[134:135], s[0:1]
	v_add_f64 v[122:123], v[142:143], v[122:123]
	v_mul_f64 v[142:143], v[213:214], s[10:11]
	v_mul_f64 v[170:171], v[183:184], s[8:9]
	v_add_f64 v[10:11], v[76:77], v[10:11]
	v_add_f64 v[74:75], v[201:202], v[74:75]
	v_mul_f64 v[76:77], v[162:163], s[22:23]
	v_add_f64 v[142:143], v[142:143], -v[247:248]
	v_mul_f64 v[201:202], v[162:163], s[20:21]
	v_add_f64 v[10:11], v[74:75], v[10:11]
	v_mul_f64 v[74:75], v[158:159], s[10:11]
	v_add_f64 v[76:77], v[221:222], v[76:77]
	v_add_f64 v[10:11], v[76:77], v[10:11]
	s_waitcnt vmcnt(0)
	v_add_f64 v[74:75], v[74:75], -v[12:13]
	buffer_load_dword v12, off, s[64:67], 0 offset:248 ; 4-byte Folded Reload
	buffer_load_dword v13, off, s[64:67], 0 offset:252 ; 4-byte Folded Reload
	s_waitcnt vmcnt(0)
	v_add_f64 v[78:79], v[78:79], -v[12:13]
	buffer_load_dword v12, off, s[64:67], 0 offset:392 ; 4-byte Folded Reload
	buffer_load_dword v13, off, s[64:67], 0 offset:396 ; 4-byte Folded Reload
	v_add_f64 v[78:79], v[20:21], v[78:79]
	s_waitcnt vmcnt(0)
	v_add_f64 v[80:81], v[80:81], -v[12:13]
	buffer_load_dword v12, off, s[64:67], 0 offset:616 ; 4-byte Folded Reload
	buffer_load_dword v13, off, s[64:67], 0 offset:620 ; 4-byte Folded Reload
	v_add_f64 v[78:79], v[80:81], v[78:79]
	v_mul_f64 v[80:81], v[181:182], s[4:5]
	v_add_f64 v[74:75], v[74:75], v[78:79]
	v_mul_f64 v[78:79], v[213:214], s[20:21]
	v_add_f64 v[78:79], v[78:79], -v[120:121]
	v_mul_f64 v[120:121], v[132:133], s[22:23]
	v_add_f64 v[120:121], v[120:121], -v[185:186]
	v_mul_f64 v[185:186], v[215:216], s[16:17]
	s_waitcnt vmcnt(0)
	v_add_f64 v[80:81], v[80:81], -v[12:13]
	buffer_load_dword v12, off, s[64:67], 0 offset:488 ; 4-byte Folded Reload
	buffer_load_dword v13, off, s[64:67], 0 offset:492 ; 4-byte Folded Reload
	v_add_f64 v[74:75], v[80:81], v[74:75]
	v_mul_f64 v[80:81], v[239:240], s[8:9]
	v_add_f64 v[74:75], v[78:79], v[74:75]
	v_add_f64 v[80:81], v[80:81], -v[164:165]
	v_mul_f64 v[78:79], v[132:133], s[0:1]
	v_mul_f64 v[164:165], v[181:182], s[8:9]
	v_add_f64 v[74:75], v[80:81], v[74:75]
	v_add_f64 v[78:79], v[78:79], -v[199:200]
	v_mul_f64 v[199:200], v[134:135], s[16:17]
	v_mul_f64 v[80:81], v[156:157], s[22:23]
	v_add_f64 v[74:75], v[78:79], v[74:75]
	v_mul_f64 v[78:79], v[160:161], s[18:19]
	v_add_f64 v[80:81], v[80:81], -v[219:220]
	s_waitcnt vmcnt(0)
	v_add_f64 v[78:79], v[12:13], v[78:79]
	buffer_load_dword v12, off, s[64:67], 0 offset:232 ; 4-byte Folded Reload
	buffer_load_dword v13, off, s[64:67], 0 offset:236 ; 4-byte Folded Reload
	s_waitcnt vmcnt(0)
	v_add_f64 v[82:83], v[12:13], v[82:83]
	buffer_load_dword v12, off, s[64:67], 0 offset:376 ; 4-byte Folded Reload
	buffer_load_dword v13, off, s[64:67], 0 offset:380 ; 4-byte Folded Reload
	v_add_f64 v[82:83], v[22:23], v[82:83]
	s_waitcnt vmcnt(0)
	v_add_f64 v[84:85], v[12:13], v[84:85]
	buffer_load_dword v12, off, s[64:67], 0 offset:608 ; 4-byte Folded Reload
	buffer_load_dword v13, off, s[64:67], 0 offset:612 ; 4-byte Folded Reload
	v_add_f64 v[82:83], v[84:85], v[82:83]
	v_mul_f64 v[84:85], v[183:184], s[0:1]
	v_add_f64 v[78:79], v[78:79], v[82:83]
	v_mul_f64 v[82:83], v[215:216], s[4:5]
	;; [unrolled: 2-line block ×3, first 2 shown]
	v_mul_f64 v[130:131], v[130:131], s[8:9]
	s_waitcnt vmcnt(0)
	v_add_f64 v[84:85], v[12:13], v[84:85]
	buffer_load_dword v12, off, s[64:67], 0 offset:464 ; 4-byte Folded Reload
	buffer_load_dword v13, off, s[64:67], 0 offset:468 ; 4-byte Folded Reload
	v_add_f64 v[78:79], v[84:85], v[78:79]
	v_mul_f64 v[84:85], v[243:244], s[16:17]
	v_add_f64 v[78:79], v[82:83], v[78:79]
	v_add_f64 v[84:85], v[154:155], v[84:85]
	v_mul_f64 v[82:83], v[134:135], s[22:23]
	v_mul_f64 v[154:155], v[158:159], s[22:23]
	;; [unrolled: 1-line block ×4, first 2 shown]
	v_add_f64 v[78:79], v[84:85], v[78:79]
	v_add_f64 v[82:83], v[193:194], v[82:83]
	v_mul_f64 v[84:85], v[162:163], s[10:11]
	v_mul_f64 v[193:194], v[243:244], s[18:19]
	v_add_f64 v[78:79], v[82:83], v[78:79]
	v_mul_f64 v[82:83], v[239:240], s[16:17]
	v_add_f64 v[84:85], v[217:218], v[84:85]
	v_add_f64 v[118:119], v[118:119], v[193:194]
	v_mul_f64 v[193:194], v[162:163], s[0:1]
	v_mul_f64 v[162:163], v[162:163], s[16:17]
	v_add_f64 v[82:83], v[82:83], -v[152:153]
	v_mul_f64 v[152:153], v[160:161], s[4:5]
	v_add_f64 v[68:69], v[84:85], v[78:79]
	v_add_f64 v[52:53], v[195:196], v[162:163]
	s_waitcnt vmcnt(0)
	v_add_f64 v[86:87], v[86:87], -v[12:13]
	buffer_load_dword v12, off, s[64:67], 0 offset:216 ; 4-byte Folded Reload
	buffer_load_dword v13, off, s[64:67], 0 offset:220 ; 4-byte Folded Reload
	s_waitcnt vmcnt(0)
	v_add_f64 v[104:105], v[104:105], -v[12:13]
	buffer_load_dword v12, off, s[64:67], 0 offset:368 ; 4-byte Folded Reload
	buffer_load_dword v13, off, s[64:67], 0 offset:372 ; 4-byte Folded Reload
	v_add_f64 v[104:105], v[20:21], v[104:105]
	s_waitcnt vmcnt(0)
	v_add_f64 v[114:115], v[114:115], -v[12:13]
	buffer_load_dword v12, off, s[64:67], 0 offset:592 ; 4-byte Folded Reload
	buffer_load_dword v13, off, s[64:67], 0 offset:596 ; 4-byte Folded Reload
	v_add_f64 v[104:105], v[114:115], v[104:105]
	v_mul_f64 v[114:115], v[181:182], s[0:1]
	v_add_f64 v[86:87], v[86:87], v[104:105]
	v_mul_f64 v[104:105], v[213:214], s[4:5]
	v_add_f64 v[104:105], v[104:105], -v[106:107]
	v_mul_f64 v[106:107], v[160:161], s[20:21]
	v_mul_f64 v[160:161], v[160:161], s[22:23]
	s_waitcnt vmcnt(0)
	v_add_f64 v[114:115], v[114:115], -v[12:13]
	buffer_load_dword v12, off, s[64:67], 0 offset:456 ; 4-byte Folded Reload
	buffer_load_dword v13, off, s[64:67], 0 offset:460 ; 4-byte Folded Reload
	v_add_f64 v[86:87], v[114:115], v[86:87]
	v_mul_f64 v[114:115], v[112:113], s[4:5]
	v_mul_f64 v[112:113], v[112:113], s[10:11]
	v_add_f64 v[86:87], v[104:105], v[86:87]
	v_mul_f64 v[104:105], v[110:111], s[0:1]
	v_add_f64 v[82:83], v[82:83], v[86:87]
	v_mul_f64 v[86:87], v[110:111], s[10:11]
	v_mul_f64 v[110:111], v[110:111], s[4:5]
	v_add_f64 v[82:83], v[120:121], v[82:83]
	v_mul_f64 v[120:121], v[181:182], s[18:19]
	v_mul_f64 v[181:182], v[215:216], s[18:19]
	s_waitcnt vmcnt(0)
	v_add_f64 v[106:107], v[12:13], v[106:107]
	buffer_load_dword v12, off, s[64:67], 0 offset:168 ; 4-byte Folded Reload
	buffer_load_dword v13, off, s[64:67], 0 offset:172 ; 4-byte Folded Reload
	s_waitcnt vmcnt(0)
	v_add_f64 v[114:115], v[12:13], v[114:115]
	buffer_load_dword v12, off, s[64:67], 0 offset:344 ; 4-byte Folded Reload
	buffer_load_dword v13, off, s[64:67], 0 offset:348 ; 4-byte Folded Reload
	v_add_f64 v[114:115], v[22:23], v[114:115]
	s_waitcnt vmcnt(0)
	v_add_f64 v[116:117], v[12:13], v[116:117]
	buffer_load_dword v12, off, s[64:67], 0 offset:568 ; 4-byte Folded Reload
	buffer_load_dword v13, off, s[64:67], 0 offset:572 ; 4-byte Folded Reload
	v_add_f64 v[114:115], v[116:117], v[114:115]
	v_mul_f64 v[116:117], v[183:184], s[18:19]
	v_mul_f64 v[183:184], v[213:214], s[16:17]
	v_add_f64 v[106:107], v[106:107], v[114:115]
	v_mul_f64 v[114:115], v[215:216], s[10:11]
	v_add_f64 v[114:115], v[253:254], v[114:115]
	s_waitcnt vmcnt(0)
	v_add_f64 v[116:117], v[12:13], v[116:117]
	buffer_load_dword v12, off, s[64:67], 0 offset:544 ; 4-byte Folded Reload
	buffer_load_dword v13, off, s[64:67], 0 offset:548 ; 4-byte Folded Reload
	v_add_f64 v[106:107], v[116:117], v[106:107]
	v_mul_f64 v[116:117], v[156:157], s[10:11]
	v_add_f64 v[106:107], v[114:115], v[106:107]
	v_mul_f64 v[114:115], v[128:129], s[10:11]
	v_add_f64 v[116:117], v[116:117], -v[211:212]
	v_add_f64 v[106:107], v[122:123], v[106:107]
	v_mul_f64 v[122:123], v[128:129], s[8:9]
	v_mul_f64 v[128:129], v[128:129], s[22:23]
	v_add_f64 v[84:85], v[140:141], v[106:107]
	v_add_f64 v[106:107], v[144:145], v[134:135]
	s_waitcnt vmcnt(0)
	v_add_f64 v[120:121], v[120:121], -v[12:13]
	buffer_load_dword v12, off, s[64:67], 0 offset:136 ; 4-byte Folded Reload
	buffer_load_dword v13, off, s[64:67], 0 offset:140 ; 4-byte Folded Reload
	s_waitcnt vmcnt(0)
	v_add_f64 v[110:111], v[110:111], -v[12:13]
	buffer_load_dword v12, off, s[64:67], 0 offset:280 ; 4-byte Folded Reload
	buffer_load_dword v13, off, s[64:67], 0 offset:284 ; 4-byte Folded Reload
	v_add_f64 v[110:111], v[20:21], v[110:111]
	s_waitcnt vmcnt(0)
	v_add_f64 v[128:129], v[128:129], -v[12:13]
	buffer_load_dword v12, off, s[64:67], 0 offset:120 ; 4-byte Folded Reload
	buffer_load_dword v13, off, s[64:67], 0 offset:124 ; 4-byte Folded Reload
	v_add_f64 v[110:111], v[128:129], v[110:111]
	v_mul_f64 v[128:129], v[239:240], s[22:23]
	s_waitcnt vmcnt(0)
	v_add_f64 v[112:113], v[12:13], v[112:113]
	buffer_load_dword v12, off, s[64:67], 0 offset:400 ; 4-byte Folded Reload
	buffer_load_dword v13, off, s[64:67], 0 offset:404 ; 4-byte Folded Reload
	v_add_f64 v[112:113], v[22:23], v[112:113]
	s_waitcnt vmcnt(0)
	v_add_f64 v[158:159], v[158:159], -v[12:13]
	buffer_load_dword v12, off, s[64:67], 0 offset:256 ; 4-byte Folded Reload
	buffer_load_dword v13, off, s[64:67], 0 offset:260 ; 4-byte Folded Reload
	v_add_f64 v[110:111], v[158:159], v[110:111]
	v_mul_f64 v[158:159], v[132:133], s[16:17]
	v_add_f64 v[110:111], v[120:121], v[110:111]
	v_mul_f64 v[120:121], v[156:157], s[20:21]
	v_add_f64 v[78:79], v[142:143], v[110:111]
	v_add_f64 v[26:27], v[54:55], v[78:79]
	v_add_f64 v[54:55], v[187:188], v[193:194]
	s_waitcnt vmcnt(0)
	v_add_f64 v[130:131], v[12:13], v[130:131]
	buffer_load_dword v12, off, s[64:67], 0 offset:384 ; 4-byte Folded Reload
	buffer_load_dword v13, off, s[64:67], 0 offset:388 ; 4-byte Folded Reload
	v_add_f64 v[112:113], v[130:131], v[112:113]
	v_mul_f64 v[130:131], v[239:240], s[18:19]
	v_add_f64 v[36:37], v[130:131], -v[249:250]
	s_waitcnt vmcnt(0)
	v_add_f64 v[160:161], v[12:13], v[160:161]
	buffer_load_dword v12, off, s[64:67], 0 offset:496 ; 4-byte Folded Reload
	buffer_load_dword v13, off, s[64:67], 0 offset:500 ; 4-byte Folded Reload
	v_add_f64 v[112:113], v[160:161], v[112:113]
	v_mul_f64 v[160:161], v[132:133], s[4:5]
	v_mul_f64 v[132:133], v[132:133], s[8:9]
	v_add_f64 v[24:25], v[132:133], -v[146:147]
	s_waitcnt vmcnt(0)
	v_add_f64 v[176:177], v[12:13], v[176:177]
	buffer_load_dword v12, off, s[64:67], 0 offset:600 ; 4-byte Folded Reload
	buffer_load_dword v13, off, s[64:67], 0 offset:604 ; 4-byte Folded Reload
	v_add_f64 v[112:113], v[176:177], v[112:113]
	v_mul_f64 v[176:177], v[156:157], s[0:1]
	v_mul_f64 v[156:157], v[156:157], s[16:17]
	v_add_f64 v[108:109], v[156:157], -v[191:192]
	s_waitcnt vmcnt(0)
	v_add_f64 v[185:186], v[12:13], v[185:186]
	buffer_load_dword v12, off, s[64:67], 0 offset:96 ; 4-byte Folded Reload
	buffer_load_dword v13, off, s[64:67], 0 offset:100 ; 4-byte Folded Reload
	v_add_f64 v[76:77], v[185:186], v[112:113]
	v_add_f64 v[76:77], v[118:119], v[76:77]
	v_add_f64 v[76:77], v[106:107], v[76:77]
	s_waitcnt vmcnt(0)
	v_add_f64 v[78:79], v[12:13], v[138:139]
	buffer_load_dword v12, off, s[64:67], 0 offset:88 ; 4-byte Folded Reload
	buffer_load_dword v13, off, s[64:67], 0 offset:92 ; 4-byte Folded Reload
	v_add_f64 v[22:23], v[22:23], v[78:79]
	s_waitcnt vmcnt(0)
	v_add_f64 v[28:29], v[104:105], -v[12:13]
	buffer_load_dword v12, off, s[64:67], 0 offset:104 ; 4-byte Folded Reload
	buffer_load_dword v13, off, s[64:67], 0 offset:108 ; 4-byte Folded Reload
	v_add_f64 v[28:29], v[20:21], v[28:29]
	s_waitcnt vmcnt(0)
	v_add_f64 v[30:31], v[86:87], -v[12:13]
	;; [unrolled: 5-line block ×3, first 2 shown]
	buffer_load_dword v12, off, s[64:67], 0 offset:184 ; 4-byte Folded Reload
	buffer_load_dword v13, off, s[64:67], 0 offset:188 ; 4-byte Folded Reload
	v_add_f64 v[20:21], v[86:87], v[20:21]
	s_waitcnt vmcnt(0)
	v_add_f64 v[104:105], v[12:13], v[148:149]
	buffer_load_dword v12, off, s[64:67], 0 offset:152 ; 4-byte Folded Reload
	buffer_load_dword v13, off, s[64:67], 0 offset:156 ; 4-byte Folded Reload
	v_add_f64 v[22:23], v[104:105], v[22:23]
	s_waitcnt vmcnt(0)
	v_add_f64 v[78:79], v[114:115], -v[12:13]
	buffer_load_dword v12, off, s[64:67], 0 offset:320 ; 4-byte Folded Reload
	buffer_load_dword v13, off, s[64:67], 0 offset:324 ; 4-byte Folded Reload
	v_add_f64 v[28:29], v[78:79], v[28:29]
	s_waitcnt vmcnt(0)
	v_add_f64 v[30:31], v[154:155], -v[12:13]
	buffer_load_dword v12, off, s[64:67], 0 offset:304 ; 4-byte Folded Reload
	buffer_load_dword v13, off, s[64:67], 0 offset:308 ; 4-byte Folded Reload
	v_add_f64 v[20:21], v[30:31], v[20:21]
	s_waitcnt vmcnt(0)
	v_add_f64 v[40:41], v[12:13], v[152:153]
	buffer_load_dword v12, off, s[64:67], 0 offset:296 ; 4-byte Folded Reload
	buffer_load_dword v13, off, s[64:67], 0 offset:300 ; 4-byte Folded Reload
	v_add_f64 v[22:23], v[40:41], v[22:23]
	s_waitcnt vmcnt(0)
	v_add_f64 v[42:43], v[150:151], -v[12:13]
	buffer_load_dword v12, off, s[64:67], 0 offset:432 ; 4-byte Folded Reload
	buffer_load_dword v13, off, s[64:67], 0 offset:436 ; 4-byte Folded Reload
	v_add_f64 v[28:29], v[42:43], v[28:29]
	s_waitcnt vmcnt(0)
	v_add_f64 v[44:45], v[174:175], -v[12:13]
	buffer_load_dword v12, off, s[64:67], 0 offset:424 ; 4-byte Folded Reload
	buffer_load_dword v13, off, s[64:67], 0 offset:428 ; 4-byte Folded Reload
	v_add_f64 v[20:21], v[44:45], v[20:21]
	s_waitcnt vmcnt(0)
	v_add_f64 v[46:47], v[12:13], v[170:171]
	buffer_load_dword v12, off, s[64:67], 0 offset:416 ; 4-byte Folded Reload
	buffer_load_dword v13, off, s[64:67], 0 offset:420 ; 4-byte Folded Reload
	v_add_f64 v[22:23], v[46:47], v[22:23]
	s_waitcnt vmcnt(0)
	v_add_f64 v[40:41], v[164:165], -v[12:13]
	buffer_load_dword v12, off, s[64:67], 0 offset:552 ; 4-byte Folded Reload
	buffer_load_dword v13, off, s[64:67], 0 offset:556 ; 4-byte Folded Reload
	v_add_f64 v[28:29], v[40:41], v[28:29]
	v_add_f64 v[40:41], v[120:121], -v[166:167]
	s_waitcnt vmcnt(0)
	v_add_f64 v[30:31], v[183:184], -v[12:13]
	buffer_load_dword v12, off, s[64:67], 0 offset:528 ; 4-byte Folded Reload
	buffer_load_dword v13, off, s[64:67], 0 offset:532 ; 4-byte Folded Reload
	v_add_f64 v[20:21], v[30:31], v[20:21]
	v_add_f64 v[30:31], v[160:161], -v[136:137]
	v_add_f64 v[20:21], v[36:37], v[20:21]
	v_add_f64 v[36:37], v[176:177], -v[172:173]
	v_add_f64 v[20:21], v[30:31], v[20:21]
	s_waitcnt vmcnt(0)
	v_add_f64 v[32:33], v[12:13], v[181:182]
	buffer_load_dword v12, off, s[64:67], 0 offset:520 ; 4-byte Folded Reload
	buffer_load_dword v13, off, s[64:67], 0 offset:524 ; 4-byte Folded Reload
	v_add_f64 v[22:23], v[32:33], v[22:23]
	v_add_f64 v[32:33], v[128:129], -v[237:238]
	v_add_f64 v[22:23], v[38:39], v[22:23]
	v_add_f64 v[38:39], v[158:159], -v[124:125]
	s_waitcnt vmcnt(0)
	v_add_f64 v[34:35], v[178:179], -v[12:13]
	buffer_load_dword v12, off, s[64:67], 0 offset:84 ; 4-byte Folded Reload
	v_add_f64 v[28:29], v[34:35], v[28:29]
	v_add_f64 v[34:35], v[126:127], v[199:200]
	;; [unrolled: 1-line block ×18, first 2 shown]
	s_waitcnt vmcnt(0)
	v_add_lshl_u32 v12, v180, v12, 4
	ds_write_b128 v12, v[32:35]
	ds_write_b128 v12, v[28:31] offset:16
	ds_write_b128 v12, v[24:27] offset:32
	;; [unrolled: 1-line block ×11, first 2 shown]
	buffer_load_dword v0, off, s[64:67], 0 offset:52 ; 4-byte Folded Reload
	buffer_load_dword v1, off, s[64:67], 0 offset:56 ; 4-byte Folded Reload
	buffer_load_dword v2, off, s[64:67], 0 offset:60 ; 4-byte Folded Reload
	buffer_load_dword v3, off, s[64:67], 0 offset:64 ; 4-byte Folded Reload
	s_waitcnt vmcnt(0)
	ds_write_b128 v12, v[0:3] offset:192
	buffer_load_dword v0, off, s[64:67], 0 offset:36 ; 4-byte Folded Reload
	buffer_load_dword v1, off, s[64:67], 0 offset:40 ; 4-byte Folded Reload
	buffer_load_dword v2, off, s[64:67], 0 offset:44 ; 4-byte Folded Reload
	buffer_load_dword v3, off, s[64:67], 0 offset:48 ; 4-byte Folded Reload
	s_waitcnt vmcnt(0)
	ds_write_b128 v12, v[0:3] offset:208
	;; [unrolled: 6-line block ×4, first 2 shown]
	ds_write_b128 v12, v[16:19] offset:256
.LBB0_7:
	s_or_b64 exec, exec, s[24:25]
	s_waitcnt vmcnt(0) lgkmcnt(0)
	s_barrier
	buffer_load_dword v178, off, s[64:67], 0 ; 4-byte Folded Reload
	s_waitcnt vmcnt(0)
	v_add_lshl_u32 v255, v180, v178, 4
	ds_read_b128 v[56:59], v255
	ds_read_b128 v[60:63], v255 offset:1088
	ds_read_b128 v[76:79], v255 offset:2992
	;; [unrolled: 1-line block ×7, first 2 shown]
	v_cmp_gt_u16_e64 s[0:1], 51, v178
	s_and_saveexec_b64 s[4:5], s[0:1]
	s_cbranch_execz .LBB0_9
; %bb.8:
	ds_read_b128 v[92:95], v255 offset:2176
	ds_read_b128 v[100:103], v255 offset:5168
	;; [unrolled: 1-line block ×4, first 2 shown]
.LBB0_9:
	s_or_b64 exec, exec, s[4:5]
	s_movk_i32 s8, 0xf1
	v_mul_lo_u16_sdwa v0, v178, s8 dst_sel:DWORD dst_unused:UNUSED_PAD src0_sel:BYTE_0 src1_sel:DWORD
	v_lshrrev_b16_e32 v4, 12, v0
	v_add_u16_e32 v2, 0x44, v178
	v_mul_lo_u16_e32 v0, 17, v4
	v_mul_lo_u16_sdwa v3, v2, s8 dst_sel:DWORD dst_unused:UNUSED_PAD src0_sel:BYTE_0 src1_sel:DWORD
	v_sub_u16_e32 v0, v178, v0
	v_lshrrev_b16_e32 v6, 12, v3
	v_and_b32_e32 v5, 0xff, v0
	v_mul_lo_u16_e32 v3, 17, v6
	v_mad_u64_u32 v[0:1], s[4:5], v5, 48, s[2:3]
	v_sub_u16_e32 v2, v2, v3
	v_and_b32_e32 v7, 0xff, v2
	v_mad_u64_u32 v[2:3], s[4:5], v7, 48, s[2:3]
	global_load_dwordx4 v[44:47], v[0:1], off offset:16
	global_load_dwordx4 v[116:119], v[0:1], off
	global_load_dwordx4 v[32:35], v[2:3], off offset:16
	global_load_dwordx4 v[36:39], v[0:1], off offset:32
	global_load_dwordx4 v[40:43], v[2:3], off
	v_add_u16_e32 v0, 0x88, v178
	v_mul_lo_u16_sdwa v1, v0, s8 dst_sel:DWORD dst_unused:UNUSED_PAD src0_sel:BYTE_0 src1_sel:DWORD
	v_lshrrev_b16_e32 v1, 12, v1
	buffer_store_dword v1, off, s[64:67], 0 offset:88 ; 4-byte Folded Spill
	v_mul_lo_u16_e32 v1, 17, v1
	v_sub_u16_e32 v0, v0, v1
	v_and_b32_e32 v0, 0xff, v0
	buffer_store_dword v0, off, s[64:67], 0 offset:96 ; 4-byte Folded Spill
	v_mad_u64_u32 v[0:1], s[4:5], v0, 48, s[2:3]
	global_load_dwordx4 v[120:123], v[2:3], off offset:32
	global_load_dwordx4 v[12:15], v[0:1], off
	global_load_dwordx4 v[245:248], v[0:1], off offset:16
	global_load_dwordx4 v[48:51], v[0:1], off offset:32
	v_mul_u32_u24_e32 v0, 0x44, v4
	v_mul_u32_u24_e32 v1, 0x44, v6
	v_add_u32_e32 v0, v0, v5
	v_add_u32_e32 v1, v1, v7
	v_add_lshl_u32 v185, v180, v0, 4
	v_add_lshl_u32 v179, v180, v1, 4
	s_load_dwordx4 s[4:7], s[6:7], 0x0
	s_waitcnt vmcnt(0) lgkmcnt(0)
	s_barrier
	v_mul_f64 v[4:5], v[82:83], v[46:47]
	v_mul_f64 v[0:1], v[78:79], v[118:119]
	;; [unrolled: 1-line block ×8, first 2 shown]
	v_fma_f64 v[4:5], v[80:81], v[44:45], -v[4:5]
	v_fma_f64 v[76:77], v[76:77], v[116:117], -v[0:1]
	buffer_store_dword v116, off, s[64:67], 0 offset:168 ; 4-byte Folded Spill
	s_nop 0
	buffer_store_dword v117, off, s[64:67], 0 offset:172 ; 4-byte Folded Spill
	buffer_store_dword v118, off, s[64:67], 0 offset:176 ; 4-byte Folded Spill
	;; [unrolled: 1-line block ×4, first 2 shown]
	s_nop 0
	buffer_store_dword v45, off, s[64:67], 0 offset:156 ; 4-byte Folded Spill
	buffer_store_dword v46, off, s[64:67], 0 offset:160 ; 4-byte Folded Spill
	buffer_store_dword v47, off, s[64:67], 0 offset:164 ; 4-byte Folded Spill
	v_fma_f64 v[8:9], v[84:85], v[36:37], -v[8:9]
	v_mul_f64 v[28:29], v[74:75], v[122:123]
	buffer_store_dword v36, off, s[64:67], 0 offset:120 ; 4-byte Folded Spill
	s_nop 0
	buffer_store_dword v37, off, s[64:67], 0 offset:124 ; 4-byte Folded Spill
	buffer_store_dword v38, off, s[64:67], 0 offset:128 ; 4-byte Folded Spill
	;; [unrolled: 1-line block ×3, first 2 shown]
	v_mul_f64 v[22:23], v[64:65], v[42:43]
	v_mul_f64 v[26:27], v[68:69], v[34:35]
	;; [unrolled: 1-line block ×3, first 2 shown]
	v_fma_f64 v[20:21], v[64:65], v[40:41], -v[20:21]
	buffer_store_dword v40, off, s[64:67], 0 offset:136 ; 4-byte Folded Spill
	s_nop 0
	buffer_store_dword v41, off, s[64:67], 0 offset:140 ; 4-byte Folded Spill
	buffer_store_dword v42, off, s[64:67], 0 offset:144 ; 4-byte Folded Spill
	buffer_store_dword v43, off, s[64:67], 0 offset:148 ; 4-byte Folded Spill
	v_fma_f64 v[24:25], v[68:69], v[32:33], -v[24:25]
	buffer_store_dword v32, off, s[64:67], 0 offset:104 ; 4-byte Folded Spill
	s_nop 0
	buffer_store_dword v33, off, s[64:67], 0 offset:108 ; 4-byte Folded Spill
	buffer_store_dword v34, off, s[64:67], 0 offset:112 ; 4-byte Folded Spill
	buffer_store_dword v35, off, s[64:67], 0 offset:116 ; 4-byte Folded Spill
	;; [unrolled: 6-line block ×3, first 2 shown]
	v_mul_f64 v[104:105], v[102:103], v[14:15]
	v_mul_f64 v[112:113], v[90:91], v[50:51]
	;; [unrolled: 1-line block ×6, first 2 shown]
	v_add_f64 v[72:73], v[56:57], -v[4:5]
	v_add_f64 v[80:81], v[76:77], -v[8:9]
	v_fma_f64 v[0:1], v[100:101], v[12:13], -v[104:105]
	buffer_store_dword v12, off, s[64:67], 0 offset:232 ; 4-byte Folded Spill
	s_nop 0
	buffer_store_dword v13, off, s[64:67], 0 offset:236 ; 4-byte Folded Spill
	buffer_store_dword v14, off, s[64:67], 0 offset:240 ; 4-byte Folded Spill
	;; [unrolled: 1-line block ×3, first 2 shown]
	v_fma_f64 v[68:69], v[88:89], v[48:49], -v[112:113]
	buffer_store_dword v48, off, s[64:67], 0 offset:216 ; 4-byte Folded Spill
	s_nop 0
	buffer_store_dword v49, off, s[64:67], 0 offset:220 ; 4-byte Folded Spill
	buffer_store_dword v50, off, s[64:67], 0 offset:224 ; 4-byte Folded Spill
	;; [unrolled: 1-line block ×3, first 2 shown]
	v_add_f64 v[84:85], v[60:61], -v[24:25]
	v_fma_f64 v[64:65], v[96:97], v[245:246], -v[108:109]
	v_add_f64 v[8:9], v[0:1], -v[68:69]
	v_add_f64 v[4:5], v[92:93], -v[64:65]
	v_fma_f64 v[78:79], v[78:79], v[116:117], v[2:3]
	v_fma_f64 v[6:7], v[82:83], v[44:45], v[6:7]
	;; [unrolled: 1-line block ×6, first 2 shown]
	v_add_f64 v[82:83], v[78:79], -v[10:11]
	v_fma_f64 v[30:31], v[74:75], v[120:121], v[30:31]
	v_add_f64 v[74:75], v[58:59], -v[6:7]
	v_add_f64 v[6:7], v[94:95], -v[66:67]
	;; [unrolled: 1-line block ×5, first 2 shown]
	v_fma_f64 v[66:67], v[56:57], 2.0, -v[72:73]
	v_fma_f64 v[2:3], v[102:103], v[12:13], v[106:107]
	v_fma_f64 v[88:89], v[58:59], 2.0, -v[74:75]
	v_fma_f64 v[70:71], v[90:91], v[48:49], v[114:115]
	v_fma_f64 v[28:29], v[76:77], 2.0, -v[80:81]
	v_fma_f64 v[30:31], v[78:79], 2.0, -v[82:83]
	;; [unrolled: 1-line block ×6, first 2 shown]
	v_add_f64 v[20:21], v[72:73], -v[82:83]
	v_add_f64 v[10:11], v[2:3], -v[70:71]
	v_add_f64 v[22:23], v[74:75], v[80:81]
	v_add_f64 v[28:29], v[66:67], -v[28:29]
	v_add_f64 v[30:31], v[88:89], -v[30:31]
	v_add_f64 v[24:25], v[84:85], -v[24:25]
	v_add_f64 v[56:57], v[76:77], -v[56:57]
	v_add_f64 v[58:59], v[78:79], -v[58:59]
	v_add_f64 v[26:27], v[86:87], v[26:27]
	v_add_f64 v[96:97], v[4:5], -v[10:11]
	v_add_f64 v[98:99], v[6:7], v[8:9]
	v_fma_f64 v[60:61], v[72:73], 2.0, -v[20:21]
	v_fma_f64 v[62:63], v[74:75], 2.0, -v[22:23]
	;; [unrolled: 1-line block ×8, first 2 shown]
	ds_write_b128 v185, v[20:23] offset:816
	ds_write_b128 v185, v[60:63] offset:272
	;; [unrolled: 1-line block ×3, first 2 shown]
	ds_write_b128 v185, v[68:71]
	ds_write_b128 v179, v[72:75]
	ds_write_b128 v179, v[64:67] offset:272
	ds_write_b128 v179, v[56:59] offset:544
	;; [unrolled: 1-line block ×3, first 2 shown]
	s_mov_b64 s[8:9], exec
	buffer_load_dword v32, off, s[64:67], 0 offset:4 ; 4-byte Folded Reload
	buffer_load_dword v33, off, s[64:67], 0 offset:8 ; 4-byte Folded Reload
	buffer_load_dword v34, off, s[64:67], 0 offset:12 ; 4-byte Folded Reload
	buffer_load_dword v35, off, s[64:67], 0 offset:16 ; 4-byte Folded Reload
	buffer_load_dword v36, off, s[64:67], 0 offset:20 ; 4-byte Folded Reload
	buffer_load_dword v37, off, s[64:67], 0 offset:24 ; 4-byte Folded Reload
	buffer_load_dword v38, off, s[64:67], 0 offset:28 ; 4-byte Folded Reload
	buffer_load_dword v39, off, s[64:67], 0 offset:32 ; 4-byte Folded Reload
	buffer_load_dword v40, off, s[64:67], 0 offset:36 ; 4-byte Folded Reload
	buffer_load_dword v41, off, s[64:67], 0 offset:40 ; 4-byte Folded Reload
	buffer_load_dword v42, off, s[64:67], 0 offset:44 ; 4-byte Folded Reload
	buffer_load_dword v43, off, s[64:67], 0 offset:48 ; 4-byte Folded Reload
	buffer_load_dword v44, off, s[64:67], 0 offset:52 ; 4-byte Folded Reload
	buffer_load_dword v45, off, s[64:67], 0 offset:56 ; 4-byte Folded Reload
	buffer_load_dword v46, off, s[64:67], 0 offset:60 ; 4-byte Folded Reload
	buffer_load_dword v47, off, s[64:67], 0 offset:64 ; 4-byte Folded Reload
	s_and_b64 s[10:11], s[8:9], s[0:1]
	s_mov_b64 exec, s[10:11]
	s_cbranch_execz .LBB0_11
; %bb.10:
	buffer_load_dword v12, off, s[64:67], 0 offset:88 ; 4-byte Folded Reload
	buffer_load_dword v13, off, s[64:67], 0 offset:96 ; 4-byte Folded Reload
	v_fma_f64 v[20:21], v[94:95], 2.0, -v[6:7]
	v_fma_f64 v[2:3], v[2:3], 2.0, -v[10:11]
	;; [unrolled: 1-line block ×6, first 2 shown]
	v_add_f64 v[2:3], v[20:21], -v[2:3]
	v_add_f64 v[0:1], v[22:23], -v[0:1]
	v_fma_f64 v[10:11], v[20:21], 2.0, -v[2:3]
	v_fma_f64 v[8:9], v[22:23], 2.0, -v[0:1]
	s_waitcnt vmcnt(1)
	v_mul_u32_u24_e32 v12, 0x44, v12
	s_waitcnt vmcnt(0)
	v_add_u32_e32 v12, v12, v13
	v_add_lshl_u32 v12, v180, v12, 4
	ds_write_b128 v12, v[4:7] offset:272
	ds_write_b128 v12, v[0:3] offset:544
	ds_write_b128 v12, v[8:11]
	ds_write_b128 v12, v[96:99] offset:816
.LBB0_11:
	s_or_b64 exec, exec, s[8:9]
	v_mov_b32_e32 v0, s2
	s_movk_i32 s8, 0xa0
	v_mov_b32_e32 v1, s3
	v_mad_u64_u32 v[0:1], s[2:3], v178, s8, v[0:1]
	s_waitcnt vmcnt(0) lgkmcnt(0)
	s_barrier
	global_load_dwordx4 v[92:95], v[0:1], off offset:816
	global_load_dwordx4 v[84:87], v[0:1], off offset:832
	;; [unrolled: 1-line block ×10, first 2 shown]
	ds_read_b128 v[0:3], v255
	ds_read_b128 v[4:7], v255 offset:1088
	ds_read_b128 v[8:11], v255 offset:2176
	;; [unrolled: 1-line block ×10, first 2 shown]
	s_mov_b32 s26, 0xf8bb580b
	s_mov_b32 s27, 0xbfe14ced
	;; [unrolled: 1-line block ×26, first 2 shown]
	s_waitcnt vmcnt(9) lgkmcnt(9)
	v_mul_f64 v[120:121], v[6:7], v[94:95]
	v_mul_f64 v[122:123], v[4:5], v[94:95]
	s_waitcnt vmcnt(8) lgkmcnt(8)
	v_mul_f64 v[124:125], v[10:11], v[86:87]
	v_mul_f64 v[126:127], v[8:9], v[86:87]
	s_waitcnt vmcnt(7) lgkmcnt(7)
	v_mul_f64 v[128:129], v[22:23], v[70:71]
	s_waitcnt vmcnt(4) lgkmcnt(4)
	v_mul_f64 v[140:141], v[102:103], v[74:75]
	v_mul_f64 v[142:143], v[100:101], v[74:75]
	s_waitcnt vmcnt(2) lgkmcnt(2)
	v_mul_f64 v[148:149], v[110:111], v[14:15]
	;; [unrolled: 3-line block ×4, first 2 shown]
	v_mul_f64 v[158:159], v[116:117], v[82:83]
	v_fma_f64 v[4:5], v[4:5], v[92:93], -v[120:121]
	v_fma_f64 v[6:7], v[6:7], v[92:93], v[122:123]
	v_fma_f64 v[108:109], v[108:109], v[12:13], -v[148:149]
	buffer_store_dword v12, off, s[64:67], 0 offset:200 ; 4-byte Folded Spill
	s_nop 0
	buffer_store_dword v13, off, s[64:67], 0 offset:204 ; 4-byte Folded Spill
	buffer_store_dword v14, off, s[64:67], 0 offset:208 ; 4-byte Folded Spill
	;; [unrolled: 1-line block ×3, first 2 shown]
	v_mul_f64 v[130:131], v[20:21], v[70:71]
	v_mul_f64 v[132:133], v[26:27], v[62:63]
	;; [unrolled: 1-line block ×3, first 2 shown]
	v_fma_f64 v[8:9], v[8:9], v[84:85], -v[124:125]
	v_fma_f64 v[10:11], v[10:11], v[84:85], v[126:127]
	v_fma_f64 v[120:121], v[100:101], v[72:73], -v[140:141]
	v_fma_f64 v[122:123], v[102:103], v[72:73], v[142:143]
	v_fma_f64 v[100:101], v[116:117], v[80:81], -v[156:157]
	v_fma_f64 v[102:103], v[118:119], v[80:81], v[158:159]
	v_fma_f64 v[112:113], v[112:113], v[76:77], -v[152:153]
	v_fma_f64 v[114:115], v[114:115], v[76:77], v[154:155]
	v_add_f64 v[116:117], v[0:1], v[4:5]
	v_add_f64 v[118:119], v[2:3], v[6:7]
	v_fma_f64 v[20:21], v[20:21], v[68:69], -v[128:129]
	v_fma_f64 v[22:23], v[22:23], v[68:69], v[130:131]
	v_fma_f64 v[24:25], v[24:25], v[60:61], -v[132:133]
	v_fma_f64 v[26:27], v[26:27], v[60:61], v[134:135]
	v_add_f64 v[128:129], v[8:9], v[112:113]
	v_add_f64 v[130:131], v[10:11], v[114:115]
	v_add_f64 v[132:133], v[8:9], -v[112:113]
	v_add_f64 v[134:135], v[10:11], -v[114:115]
	v_add_f64 v[8:9], v[116:117], v[8:9]
	v_add_f64 v[10:11], v[118:119], v[10:11]
	v_mul_f64 v[136:137], v[30:31], v[90:91]
	v_mul_f64 v[138:139], v[28:29], v[90:91]
	;; [unrolled: 1-line block ×4, first 2 shown]
	v_add_f64 v[124:125], v[4:5], v[100:101]
	v_add_f64 v[4:5], v[4:5], -v[100:101]
	v_add_f64 v[8:9], v[8:9], v[20:21]
	v_add_f64 v[10:11], v[10:11], v[22:23]
	v_fma_f64 v[28:29], v[28:29], v[88:89], -v[136:137]
	v_fma_f64 v[30:31], v[30:31], v[88:89], v[138:139]
	v_fma_f64 v[104:105], v[104:105], v[64:65], -v[144:145]
	v_fma_f64 v[106:107], v[106:107], v[64:65], v[146:147]
	v_add_f64 v[126:127], v[6:7], v[102:103]
	v_add_f64 v[6:7], v[6:7], -v[102:103]
	v_add_f64 v[8:9], v[8:9], v[24:25]
	v_add_f64 v[10:11], v[10:11], v[26:27]
	v_mul_f64 v[118:119], v[4:5], s[26:27]
	v_mul_f64 v[138:139], v[4:5], s[16:17]
	;; [unrolled: 1-line block ×6, first 2 shown]
	v_add_f64 v[8:9], v[8:9], v[28:29]
	v_add_f64 v[10:11], v[10:11], v[30:31]
	v_mul_f64 v[136:137], v[6:7], s[16:17]
	v_mul_f64 v[140:141], v[6:7], s[10:11]
	;; [unrolled: 1-line block ×4, first 2 shown]
	v_fma_f64 v[158:159], v[126:127], s[18:19], v[118:119]
	v_mul_f64 v[148:149], v[134:135], s[16:17]
	v_add_f64 v[8:9], v[8:9], v[120:121]
	v_add_f64 v[10:11], v[10:11], v[122:123]
	v_mul_f64 v[152:153], v[134:135], s[22:23]
	v_fma_f64 v[156:157], v[124:125], s[18:19], -v[116:117]
	v_fma_f64 v[116:117], v[124:125], s[18:19], v[116:117]
	v_fma_f64 v[118:119], v[126:127], s[18:19], -v[118:119]
	v_fma_f64 v[160:161], v[124:125], s[2:3], -v[136:137]
	v_fma_f64 v[162:163], v[126:127], s[2:3], v[138:139]
	v_add_f64 v[8:9], v[8:9], v[104:105]
	v_add_f64 v[10:11], v[10:11], v[106:107]
	v_fma_f64 v[136:137], v[124:125], s[2:3], v[136:137]
	v_fma_f64 v[138:139], v[126:127], s[2:3], -v[138:139]
	v_fma_f64 v[164:165], v[124:125], s[8:9], -v[140:141]
	v_fma_f64 v[166:167], v[126:127], s[8:9], v[142:143]
	v_fma_f64 v[140:141], v[124:125], s[8:9], v[140:141]
	v_fma_f64 v[142:143], v[126:127], s[8:9], -v[142:143]
	v_fma_f64 v[168:169], v[124:125], s[20:21], -v[144:145]
	v_fma_f64 v[170:171], v[126:127], s[20:21], v[146:147]
	;; [unrolled: 4-line block ×3, first 2 shown]
	v_fma_f64 v[6:7], v[124:125], s[24:25], v[6:7]
	v_fma_f64 v[110:111], v[110:111], v[12:13], v[150:151]
	v_mul_f64 v[150:151], v[132:133], s[16:17]
	v_fma_f64 v[4:5], v[126:127], s[24:25], -v[4:5]
	v_add_f64 v[158:159], v[2:3], v[158:159]
	v_add_f64 v[8:9], v[8:9], v[108:109]
	v_fma_f64 v[124:125], v[128:129], s[2:3], -v[148:149]
	v_fma_f64 v[148:149], v[128:129], s[2:3], v[148:149]
	v_fma_f64 v[176:177], v[128:129], s[20:21], -v[152:153]
	v_add_f64 v[10:11], v[10:11], v[110:111]
	v_fma_f64 v[126:127], v[130:131], s[2:3], v[150:151]
	v_add_f64 v[156:157], v[0:1], v[156:157]
	v_add_f64 v[116:117], v[0:1], v[116:117]
	;; [unrolled: 1-line block ×14, first 2 shown]
	v_mul_f64 v[126:127], v[132:133], s[36:37]
	v_mul_f64 v[154:155], v[132:133], s[22:23]
	v_fma_f64 v[150:151], v[130:131], s[2:3], -v[150:151]
	v_add_f64 v[118:119], v[2:3], v[118:119]
	v_add_f64 v[162:163], v[2:3], v[162:163]
	;; [unrolled: 1-line block ×12, first 2 shown]
	v_fma_f64 v[156:157], v[130:131], s[24:25], v[126:127]
	v_fma_f64 v[126:127], v[130:131], s[24:25], -v[126:127]
	v_mul_f64 v[160:161], v[132:133], s[34:35]
	v_add_f64 v[102:103], v[10:11], v[102:103]
	v_add_f64 v[10:11], v[150:151], v[118:119]
	v_mul_f64 v[124:125], v[134:135], s[36:37]
	v_mul_f64 v[148:149], v[134:135], s[34:35]
	v_fma_f64 v[150:151], v[128:129], s[20:21], v[152:153]
	v_fma_f64 v[152:153], v[130:131], s[20:21], -v[154:155]
	v_add_f64 v[126:127], v[126:127], v[142:143]
	v_fma_f64 v[142:143], v[130:131], s[8:9], v[160:161]
	v_fma_f64 v[118:119], v[130:131], s[20:21], v[154:155]
	v_mul_f64 v[134:135], v[134:135], s[30:31]
	v_fma_f64 v[154:155], v[128:129], s[24:25], -v[124:125]
	v_fma_f64 v[124:125], v[128:129], s[24:25], v[124:125]
	v_fma_f64 v[158:159], v[128:129], s[8:9], -v[148:149]
	v_add_f64 v[138:139], v[152:153], v[138:139]
	v_add_f64 v[152:153], v[156:157], v[166:167]
	v_fma_f64 v[148:149], v[128:129], s[8:9], v[148:149]
	v_mul_f64 v[132:133], v[132:133], s[30:31]
	v_fma_f64 v[156:157], v[130:131], s[8:9], -v[160:161]
	v_add_f64 v[112:113], v[142:143], v[112:113]
	v_add_f64 v[142:143], v[20:21], -v[108:109]
	v_add_f64 v[136:137], v[150:151], v[136:137]
	v_add_f64 v[150:151], v[154:155], v[164:165]
	;; [unrolled: 1-line block ×4, first 2 shown]
	v_add_f64 v[154:155], v[22:23], -v[110:111]
	v_add_f64 v[114:115], v[148:149], v[114:115]
	v_fma_f64 v[148:149], v[128:129], s[18:19], -v[134:135]
	v_fma_f64 v[158:159], v[130:131], s[18:19], v[132:133]
	v_add_f64 v[144:145], v[156:157], v[144:145]
	v_add_f64 v[22:23], v[22:23], v[110:111]
	v_mul_f64 v[110:111], v[142:143], s[10:11]
	v_fma_f64 v[130:131], v[130:131], s[18:19], -v[132:133]
	v_mul_f64 v[156:157], v[142:143], s[36:37]
	v_add_f64 v[118:119], v[118:119], v[162:163]
	v_add_f64 v[20:21], v[20:21], v[108:109]
	v_mul_f64 v[108:109], v[154:155], s[10:11]
	v_fma_f64 v[128:129], v[128:129], s[18:19], v[134:135]
	v_add_f64 v[134:135], v[148:149], v[146:147]
	v_add_f64 v[146:147], v[158:159], v[170:171]
	v_mul_f64 v[148:149], v[154:155], s[36:37]
	v_fma_f64 v[158:159], v[22:23], s[8:9], v[110:111]
	v_add_f64 v[2:3], v[130:131], v[2:3]
	v_fma_f64 v[110:111], v[22:23], s[8:9], -v[110:111]
	v_fma_f64 v[130:131], v[22:23], s[24:25], v[156:157]
	v_fma_f64 v[132:133], v[20:21], s[8:9], -v[108:109]
	v_add_f64 v[0:1], v[128:129], v[0:1]
	v_fma_f64 v[108:109], v[20:21], s[8:9], v[108:109]
	v_fma_f64 v[128:129], v[20:21], s[24:25], -v[148:149]
	s_mov_b32 s17, 0x3fed1bb4
	v_add_f64 v[6:7], v[158:159], v[6:7]
	v_add_f64 v[10:11], v[110:111], v[10:11]
	;; [unrolled: 1-line block ×3, first 2 shown]
	v_fma_f64 v[118:119], v[22:23], s[24:25], -v[156:157]
	v_mul_f64 v[156:157], v[142:143], s[26:27]
	v_add_f64 v[4:5], v[132:133], v[4:5]
	v_mul_f64 v[132:133], v[154:155], s[16:17]
	v_add_f64 v[8:9], v[108:109], v[8:9]
	v_add_f64 v[108:109], v[128:129], v[116:117]
	v_fma_f64 v[116:117], v[20:21], s[24:25], v[148:149]
	v_mul_f64 v[148:149], v[154:155], s[26:27]
	v_add_f64 v[118:119], v[118:119], v[138:139]
	v_fma_f64 v[138:139], v[22:23], s[18:19], v[156:157]
	v_mul_f64 v[158:159], v[142:143], s[16:17]
	v_fma_f64 v[128:129], v[20:21], s[2:3], -v[132:133]
	v_fma_f64 v[132:133], v[20:21], s[2:3], v[132:133]
	v_mul_f64 v[142:143], v[142:143], s[22:23]
	v_add_f64 v[116:117], v[116:117], v[136:137]
	v_fma_f64 v[136:137], v[20:21], s[18:19], -v[148:149]
	v_fma_f64 v[148:149], v[20:21], s[18:19], v[148:149]
	v_add_f64 v[112:113], v[138:139], v[112:113]
	v_add_f64 v[138:139], v[26:27], -v[106:107]
	v_fma_f64 v[130:131], v[22:23], s[2:3], v[158:159]
	v_add_f64 v[124:125], v[132:133], v[124:125]
	v_mul_f64 v[132:133], v[154:155], s[22:23]
	v_fma_f64 v[158:159], v[22:23], s[2:3], -v[158:159]
	v_add_f64 v[136:137], v[136:137], v[140:141]
	v_add_f64 v[140:141], v[24:25], -v[104:105]
	v_add_f64 v[24:25], v[24:25], v[104:105]
	v_mul_f64 v[104:105], v[138:139], s[22:23]
	v_add_f64 v[128:129], v[128:129], v[150:151]
	v_add_f64 v[130:131], v[130:131], v[152:153]
	v_fma_f64 v[150:151], v[22:23], s[18:19], -v[156:157]
	v_fma_f64 v[152:153], v[20:21], s[20:21], -v[132:133]
	v_fma_f64 v[154:155], v[22:23], s[20:21], v[142:143]
	v_add_f64 v[114:115], v[148:149], v[114:115]
	v_add_f64 v[26:27], v[26:27], v[106:107]
	v_mul_f64 v[106:107], v[140:141], s[22:23]
	v_fma_f64 v[20:21], v[20:21], s[20:21], v[132:133]
	v_fma_f64 v[22:23], v[22:23], s[20:21], -v[142:143]
	v_mul_f64 v[132:133], v[138:139], s[34:35]
	v_mul_f64 v[142:143], v[140:141], s[34:35]
	v_fma_f64 v[148:149], v[24:25], s[20:21], -v[104:105]
	v_fma_f64 v[104:105], v[24:25], s[20:21], v[104:105]
	v_add_f64 v[144:145], v[150:151], v[144:145]
	v_fma_f64 v[150:151], v[26:27], s[20:21], v[106:107]
	v_fma_f64 v[106:107], v[26:27], s[20:21], -v[106:107]
	v_add_f64 v[0:1], v[20:21], v[0:1]
	v_add_f64 v[2:3], v[22:23], v[2:3]
	v_fma_f64 v[20:21], v[24:25], s[8:9], -v[132:133]
	v_fma_f64 v[22:23], v[26:27], s[8:9], v[142:143]
	v_add_f64 v[8:9], v[104:105], v[8:9]
	v_mul_f64 v[104:105], v[138:139], s[26:27]
	v_add_f64 v[4:5], v[148:149], v[4:5]
	v_add_f64 v[10:11], v[106:107], v[10:11]
	v_mul_f64 v[106:107], v[140:141], s[26:27]
	v_fma_f64 v[142:143], v[26:27], s[8:9], -v[142:143]
	v_add_f64 v[20:21], v[20:21], v[108:109]
	v_add_f64 v[22:23], v[22:23], v[110:111]
	v_mul_f64 v[108:109], v[138:139], s[28:29]
	v_mul_f64 v[110:111], v[140:141], s[28:29]
	v_fma_f64 v[148:149], v[24:25], s[18:19], -v[104:105]
	v_add_f64 v[126:127], v[158:159], v[126:127]
	v_add_f64 v[134:135], v[152:153], v[134:135]
	;; [unrolled: 1-line block ×4, first 2 shown]
	v_fma_f64 v[132:133], v[24:25], s[8:9], v[132:133]
	v_fma_f64 v[150:151], v[26:27], s[18:19], v[106:107]
	v_fma_f64 v[104:105], v[24:25], s[18:19], v[104:105]
	v_fma_f64 v[106:107], v[26:27], s[18:19], -v[106:107]
	v_fma_f64 v[152:153], v[24:25], s[24:25], -v[108:109]
	v_fma_f64 v[154:155], v[26:27], s[24:25], v[110:111]
	v_add_f64 v[118:119], v[142:143], v[118:119]
	v_add_f64 v[128:129], v[148:149], v[128:129]
	v_add_f64 v[142:143], v[30:31], -v[122:123]
	v_add_f64 v[148:149], v[28:29], -v[120:121]
	v_add_f64 v[116:117], v[132:133], v[116:117]
	v_add_f64 v[124:125], v[104:105], v[124:125]
	;; [unrolled: 1-line block ×5, first 2 shown]
	v_mul_f64 v[104:105], v[138:139], s[16:17]
	v_mul_f64 v[106:107], v[140:141], s[16:17]
	v_add_f64 v[28:29], v[28:29], v[120:121]
	v_add_f64 v[30:31], v[30:31], v[122:123]
	v_mul_f64 v[112:113], v[142:143], s[28:29]
	v_mul_f64 v[120:121], v[148:149], s[28:29]
	v_fma_f64 v[108:109], v[24:25], s[24:25], v[108:109]
	v_fma_f64 v[110:111], v[26:27], s[24:25], -v[110:111]
	v_fma_f64 v[122:123], v[24:25], s[2:3], -v[104:105]
	v_fma_f64 v[138:139], v[26:27], s[2:3], v[106:107]
	v_fma_f64 v[24:25], v[24:25], s[2:3], v[104:105]
	v_fma_f64 v[26:27], v[26:27], s[2:3], -v[106:107]
	v_fma_f64 v[104:105], v[28:29], s[24:25], -v[112:113]
	v_fma_f64 v[106:107], v[30:31], s[24:25], v[120:121]
	v_add_f64 v[140:141], v[108:109], v[114:115]
	v_add_f64 v[144:145], v[110:111], v[144:145]
	v_mul_f64 v[108:109], v[142:143], s[30:31]
	v_mul_f64 v[110:111], v[148:149], s[30:31]
	v_add_f64 v[134:135], v[122:123], v[134:135]
	v_add_f64 v[0:1], v[24:25], v[0:1]
	;; [unrolled: 1-line block ×4, first 2 shown]
	v_fma_f64 v[4:5], v[28:29], s[24:25], v[112:113]
	v_fma_f64 v[6:7], v[30:31], s[24:25], -v[120:121]
	v_mul_f64 v[120:121], v[142:143], s[22:23]
	v_add_f64 v[2:3], v[26:27], v[2:3]
	v_fma_f64 v[24:25], v[28:29], s[18:19], -v[108:109]
	v_fma_f64 v[26:27], v[30:31], s[18:19], v[110:111]
	v_mul_f64 v[122:123], v[148:149], s[22:23]
	v_add_f64 v[130:131], v[150:151], v[130:131]
	v_add_f64 v[112:113], v[4:5], v[8:9]
	v_add_f64 v[146:147], v[138:139], v[146:147]
	v_fma_f64 v[4:5], v[28:29], s[20:21], -v[120:121]
	v_fma_f64 v[138:139], v[28:29], s[18:19], v[108:109]
	v_fma_f64 v[150:151], v[30:31], s[18:19], -v[110:111]
	v_add_f64 v[114:115], v[6:7], v[10:11]
	v_add_f64 v[108:109], v[24:25], v[20:21]
	;; [unrolled: 1-line block ×3, first 2 shown]
	v_fma_f64 v[8:9], v[28:29], s[20:21], v[120:121]
	v_fma_f64 v[10:11], v[30:31], s[20:21], -v[122:123]
	v_mul_f64 v[20:21], v[142:143], s[16:17]
	v_mul_f64 v[22:23], v[148:149], s[16:17]
	v_add_f64 v[120:121], v[4:5], v[128:129]
	v_mul_f64 v[4:5], v[142:143], s[10:11]
	v_fma_f64 v[6:7], v[30:31], s[20:21], v[122:123]
	v_add_f64 v[116:117], v[138:139], v[116:117]
	v_add_f64 v[124:125], v[8:9], v[124:125]
	;; [unrolled: 1-line block ×3, first 2 shown]
	v_fma_f64 v[8:9], v[28:29], s[2:3], -v[20:21]
	v_fma_f64 v[10:11], v[30:31], s[2:3], v[22:23]
	v_fma_f64 v[20:21], v[28:29], s[2:3], v[20:21]
	v_fma_f64 v[24:25], v[28:29], s[8:9], -v[4:5]
	v_fma_f64 v[4:5], v[28:29], s[8:9], v[4:5]
	v_add_f64 v[122:123], v[6:7], v[130:131]
	v_mul_f64 v[6:7], v[148:149], s[10:11]
	v_fma_f64 v[22:23], v[30:31], s[2:3], -v[22:23]
	v_add_f64 v[118:119], v[150:151], v[118:119]
	v_add_f64 v[130:131], v[10:11], v[136:137]
	;; [unrolled: 1-line block ×5, first 2 shown]
	buffer_load_dword v0, off, s[64:67], 0 offset:68 ; 4-byte Folded Reload
	v_fma_f64 v[26:27], v[30:31], s[8:9], v[6:7]
	v_fma_f64 v[6:7], v[30:31], s[8:9], -v[6:7]
	v_add_f64 v[138:139], v[22:23], v[144:145]
	v_add_f64 v[132:133], v[24:25], v[134:135]
	;; [unrolled: 1-line block ×4, first 2 shown]
	s_waitcnt vmcnt(0)
	v_lshl_add_u32 v180, v178, 4, v0
	ds_write_b128 v180, v[100:103]
	ds_write_b128 v180, v[104:107] offset:1088
	ds_write_b128 v180, v[108:111] offset:2176
	ds_write_b128 v180, v[120:123] offset:3264
	ds_write_b128 v180, v[128:131] offset:4352
	ds_write_b128 v180, v[132:135] offset:5440
	ds_write_b128 v180, v[140:143] offset:6528
	ds_write_b128 v180, v[136:139] offset:7616
	ds_write_b128 v180, v[124:127] offset:8704
	ds_write_b128 v180, v[116:119] offset:9792
	ds_write_b128 v180, v[112:115] offset:10880
	s_waitcnt lgkmcnt(0)
	s_barrier
	s_and_saveexec_b64 s[8:9], vcc
	s_cbranch_execz .LBB0_13
; %bb.12:
	buffer_load_dword v12, off, s[64:67], 0 offset:72 ; 4-byte Folded Reload
	s_add_u32 s10, s12, 0x2ec0
	s_addc_u32 s11, s13, 0
	ds_read_b128 v[2:5], v180
	v_mov_b32_e32 v1, s11
	s_waitcnt vmcnt(0)
	global_load_dwordx4 v[6:9], v12, s[10:11]
	v_add_co_u32_e64 v0, s[2:3], s10, v12
	v_addc_co_u32_e64 v1, s[2:3], 0, v1, s[2:3]
	s_movk_i32 s2, 0x1000
	s_waitcnt vmcnt(0) lgkmcnt(0)
	v_mul_f64 v[10:11], v[4:5], v[8:9]
	v_fma_f64 v[20:21], v[2:3], v[6:7], -v[10:11]
	v_mul_f64 v[2:3], v[2:3], v[8:9]
	v_fma_f64 v[22:23], v[4:5], v[6:7], v[2:3]
	global_load_dwordx4 v[6:9], v12, s[10:11] offset:704
	ds_read_b128 v[2:5], v180 offset:704
	ds_write_b128 v180, v[20:23]
	s_waitcnt vmcnt(0) lgkmcnt(1)
	v_mul_f64 v[10:11], v[4:5], v[8:9]
	v_fma_f64 v[20:21], v[2:3], v[6:7], -v[10:11]
	v_mul_f64 v[2:3], v[2:3], v[8:9]
	v_fma_f64 v[22:23], v[4:5], v[6:7], v[2:3]
	global_load_dwordx4 v[6:9], v12, s[10:11] offset:1408
	ds_read_b128 v[2:5], v180 offset:1408
	ds_write_b128 v180, v[20:23] offset:704
	s_waitcnt vmcnt(0) lgkmcnt(1)
	v_mul_f64 v[10:11], v[4:5], v[8:9]
	v_fma_f64 v[20:21], v[2:3], v[6:7], -v[10:11]
	v_mul_f64 v[2:3], v[2:3], v[8:9]
	v_fma_f64 v[22:23], v[4:5], v[6:7], v[2:3]
	global_load_dwordx4 v[6:9], v12, s[10:11] offset:2112
	ds_read_b128 v[2:5], v180 offset:2112
	ds_write_b128 v180, v[20:23] offset:1408
	s_waitcnt vmcnt(0) lgkmcnt(1)
	v_mul_f64 v[10:11], v[4:5], v[8:9]
	v_fma_f64 v[20:21], v[2:3], v[6:7], -v[10:11]
	v_mul_f64 v[2:3], v[2:3], v[8:9]
	v_fma_f64 v[22:23], v[4:5], v[6:7], v[2:3]
	global_load_dwordx4 v[6:9], v12, s[10:11] offset:2816
	ds_read_b128 v[2:5], v180 offset:2816
	ds_write_b128 v180, v[20:23] offset:2112
	s_waitcnt vmcnt(0) lgkmcnt(1)
	v_mul_f64 v[10:11], v[4:5], v[8:9]
	v_fma_f64 v[20:21], v[2:3], v[6:7], -v[10:11]
	v_mul_f64 v[2:3], v[2:3], v[8:9]
	v_fma_f64 v[22:23], v[4:5], v[6:7], v[2:3]
	global_load_dwordx4 v[6:9], v12, s[10:11] offset:3520
	ds_read_b128 v[2:5], v180 offset:3520
	ds_write_b128 v180, v[20:23] offset:2816
	s_waitcnt vmcnt(0) lgkmcnt(1)
	v_mul_f64 v[10:11], v[4:5], v[8:9]
	v_fma_f64 v[20:21], v[2:3], v[6:7], -v[10:11]
	v_mul_f64 v[2:3], v[2:3], v[8:9]
	v_add_co_u32_e64 v10, s[2:3], s2, v0
	v_addc_co_u32_e64 v11, s[2:3], 0, v1, s[2:3]
	s_movk_i32 s2, 0x2000
	v_fma_f64 v[22:23], v[4:5], v[6:7], v[2:3]
	global_load_dwordx4 v[6:9], v[10:11], off offset:128
	ds_read_b128 v[2:5], v180 offset:4224
	ds_write_b128 v180, v[20:23] offset:3520
	s_waitcnt vmcnt(0) lgkmcnt(1)
	v_mul_f64 v[20:21], v[4:5], v[8:9]
	v_fma_f64 v[20:21], v[2:3], v[6:7], -v[20:21]
	v_mul_f64 v[2:3], v[2:3], v[8:9]
	v_fma_f64 v[22:23], v[4:5], v[6:7], v[2:3]
	global_load_dwordx4 v[6:9], v[10:11], off offset:832
	ds_read_b128 v[2:5], v180 offset:4928
	ds_write_b128 v180, v[20:23] offset:4224
	s_waitcnt vmcnt(0) lgkmcnt(1)
	v_mul_f64 v[20:21], v[4:5], v[8:9]
	v_fma_f64 v[20:21], v[2:3], v[6:7], -v[20:21]
	v_mul_f64 v[2:3], v[2:3], v[8:9]
	;; [unrolled: 8-line block ×6, first 2 shown]
	v_fma_f64 v[22:23], v[4:5], v[6:7], v[2:3]
	ds_read_b128 v[2:5], v180 offset:8448
	ds_write_b128 v180, v[20:23] offset:7744
	v_add_co_u32_e64 v20, s[2:3], s2, v0
	v_addc_co_u32_e64 v21, s[2:3], 0, v1, s[2:3]
	global_load_dwordx4 v[6:9], v[20:21], off offset:256
	s_waitcnt vmcnt(0) lgkmcnt(1)
	v_mul_f64 v[0:1], v[4:5], v[8:9]
	v_fma_f64 v[0:1], v[2:3], v[6:7], -v[0:1]
	v_mul_f64 v[2:3], v[2:3], v[8:9]
	v_fma_f64 v[2:3], v[4:5], v[6:7], v[2:3]
	global_load_dwordx4 v[4:7], v[20:21], off offset:960
	ds_write_b128 v180, v[0:3] offset:8448
	ds_read_b128 v[0:3], v180 offset:9152
	s_waitcnt vmcnt(0) lgkmcnt(0)
	v_mul_f64 v[8:9], v[2:3], v[6:7]
	v_fma_f64 v[8:9], v[0:1], v[4:5], -v[8:9]
	v_mul_f64 v[0:1], v[0:1], v[6:7]
	v_fma_f64 v[10:11], v[2:3], v[4:5], v[0:1]
	global_load_dwordx4 v[4:7], v[20:21], off offset:1664
	ds_read_b128 v[0:3], v180 offset:9856
	ds_write_b128 v180, v[8:11] offset:9152
	s_waitcnt vmcnt(0) lgkmcnt(1)
	v_mul_f64 v[8:9], v[2:3], v[6:7]
	v_fma_f64 v[8:9], v[0:1], v[4:5], -v[8:9]
	v_mul_f64 v[0:1], v[0:1], v[6:7]
	v_fma_f64 v[10:11], v[2:3], v[4:5], v[0:1]
	global_load_dwordx4 v[4:7], v[20:21], off offset:2368
	ds_read_b128 v[0:3], v180 offset:10560
	ds_write_b128 v180, v[8:11] offset:9856
	s_waitcnt vmcnt(0) lgkmcnt(1)
	v_mul_f64 v[8:9], v[2:3], v[6:7]
	v_fma_f64 v[8:9], v[0:1], v[4:5], -v[8:9]
	v_mul_f64 v[0:1], v[0:1], v[6:7]
	v_fma_f64 v[10:11], v[2:3], v[4:5], v[0:1]
	v_or_b32_e32 v4, 0x2c00, v12
	global_load_dwordx4 v[4:7], v4, s[10:11]
	ds_read_b128 v[0:3], v180 offset:11264
	ds_write_b128 v180, v[8:11] offset:10560
	s_waitcnt vmcnt(0) lgkmcnt(1)
	v_mul_f64 v[8:9], v[2:3], v[6:7]
	v_fma_f64 v[8:9], v[0:1], v[4:5], -v[8:9]
	v_mul_f64 v[0:1], v[0:1], v[6:7]
	v_fma_f64 v[10:11], v[2:3], v[4:5], v[0:1]
	ds_write_b128 v180, v[8:11] offset:11264
.LBB0_13:
	s_or_b64 exec, exec, s[8:9]
	s_waitcnt lgkmcnt(0)
	s_barrier
	s_and_saveexec_b64 s[2:3], vcc
	s_cbranch_execz .LBB0_15
; %bb.14:
	ds_read_b128 v[100:103], v180
	ds_read_b128 v[104:107], v180 offset:704
	ds_read_b128 v[108:111], v180 offset:1408
	;; [unrolled: 1-line block ×16, first 2 shown]
.LBB0_15:
	s_or_b64 exec, exec, s[2:3]
	s_waitcnt lgkmcnt(0)
	v_add_f64 v[8:9], v[106:107], -v[18:19]
	s_mov_b32 s16, 0x6c9a05f6
	s_mov_b32 s18, 0x4363dd80
	;; [unrolled: 1-line block ×4, first 2 shown]
	v_add_f64 v[181:182], v[16:17], v[104:105]
	v_add_f64 v[191:192], v[18:19], v[106:107]
	v_add_f64 v[56:57], v[110:111], -v[34:35]
	v_mul_f64 v[58:59], v[8:9], s[16:17]
	v_mul_f64 v[172:173], v[8:9], s[18:19]
	buffer_store_dword v8, off, s[64:67], 0 offset:248 ; 4-byte Folded Spill
	s_nop 0
	buffer_store_dword v9, off, s[64:67], 0 offset:252 ; 4-byte Folded Spill
	s_mov_b32 s2, 0x6ed5f1bb
	s_mov_b32 s36, 0x923c349f
	;; [unrolled: 1-line block ×4, first 2 shown]
	v_add_f64 v[183:184], v[104:105], -v[16:17]
	v_mul_f64 v[48:49], v[191:192], s[2:3]
	v_fma_f64 v[0:1], v[181:182], s[2:3], -v[58:59]
	v_add_f64 v[187:188], v[32:33], v[108:109]
	v_add_f64 v[189:190], v[34:35], v[110:111]
	v_mul_f64 v[174:175], v[56:57], s[36:37]
	s_mov_b32 s22, 0xc61f0d01
	s_mov_b32 s23, 0xbfd183b1
	v_add_f64 v[199:200], v[108:109], -v[32:33]
	v_fma_f64 v[2:3], v[183:184], s[16:17], v[48:49]
	v_add_f64 v[0:1], v[100:101], v[0:1]
	s_mov_b32 s8, 0x910ea3b9
	v_mul_f64 v[160:161], v[189:190], s[22:23]
	v_fma_f64 v[24:25], v[187:188], s[22:23], -v[174:175]
	s_mov_b32 s38, 0x7c9e640b
	s_mov_b32 s9, 0xbfeb34fa
	;; [unrolled: 1-line block ×3, first 2 shown]
	v_add_f64 v[2:3], v[102:103], v[2:3]
	v_mul_f64 v[193:194], v[191:192], s[8:9]
	v_fma_f64 v[4:5], v[181:182], s[8:9], -v[172:173]
	v_mul_f64 v[52:53], v[56:57], s[38:39]
	v_add_f64 v[0:1], v[24:25], v[0:1]
	v_fma_f64 v[24:25], v[199:200], s[36:37], v[160:161]
	s_mov_b32 s24, 0x2b2883cd
	s_mov_b32 s25, 0x3fdc86fa
	v_mul_f64 v[201:202], v[189:190], s[24:25]
	v_fma_f64 v[6:7], v[183:184], s[18:19], v[193:194]
	v_add_f64 v[4:5], v[100:101], v[4:5]
	s_mov_b32 s20, 0xacd6c6b4
	s_mov_b32 s21, 0xbfc7851a
	v_add_f64 v[2:3], v[24:25], v[2:3]
	v_fma_f64 v[24:25], v[187:188], s[24:25], -v[52:53]
	s_mov_b32 s10, 0x7faef3
	s_mov_b32 s42, 0x5d8e7cdc
	v_add_f64 v[6:7], v[102:103], v[6:7]
	s_mov_b32 s11, 0xbfef7484
	s_mov_b32 s43, 0x3fd71e95
	;; [unrolled: 1-line block ×4, first 2 shown]
	v_add_f64 v[4:5], v[24:25], v[4:5]
	v_fma_f64 v[24:25], v[199:200], s[38:39], v[201:202]
	v_mul_f64 v[20:21], v[191:192], s[10:11]
	s_mov_b32 s47, 0x3fc7851a
	s_mov_b32 s46, s20
	v_add_f64 v[162:163], v[122:123], -v[38:39]
	s_mov_b32 s29, 0xbfd71e95
	s_mov_b32 s28, s42
	v_add_f64 v[195:196], v[120:121], v[36:37]
	v_add_f64 v[6:7], v[24:25], v[6:7]
	v_mul_f64 v[24:25], v[56:57], s[42:43]
	v_fma_f64 v[22:23], v[183:184], s[46:47], v[20:21]
	v_fma_f64 v[20:21], v[183:184], s[20:21], v[20:21]
	v_add_f64 v[197:198], v[122:123], v[38:39]
	v_mul_f64 v[50:51], v[162:163], s[28:29]
	v_add_f64 v[203:204], v[120:121], -v[36:37]
	s_mov_b32 s34, 0xeb564b22
	s_mov_b32 s35, 0xbfefdd0d
	v_fma_f64 v[26:27], v[187:188], s[26:27], v[24:25]
	v_fma_f64 v[24:25], v[187:188], s[26:27], -v[24:25]
	v_add_f64 v[20:21], v[102:103], v[20:21]
	v_mul_f64 v[176:177], v[197:198], s[26:27]
	v_mul_f64 v[166:167], v[162:163], s[34:35]
	s_mov_b32 s30, 0x3259b75e
	s_mov_b32 s31, 0x3fb79ee6
	v_mul_f64 v[251:252], v[197:198], s[30:31]
	v_add_f64 v[215:216], v[46:47], v[134:135]
	v_add_f64 v[164:165], v[130:131], -v[42:43]
	v_add_f64 v[205:206], v[128:129], v[40:41]
	v_add_f64 v[207:208], v[130:131], v[42:43]
	v_add_f64 v[211:212], v[128:129], -v[40:41]
	s_mov_b32 s59, 0x3fe9895b
	s_mov_b32 s58, s16
	;; [unrolled: 1-line block ×3, first 2 shown]
	v_mul_f64 v[12:13], v[215:216], s[30:31]
	v_mul_f64 v[8:9], v[8:9], s[20:21]
	;; [unrolled: 1-line block ×3, first 2 shown]
	buffer_store_dword v12, off, s[64:67], 0 offset:256 ; 4-byte Folded Spill
	s_nop 0
	buffer_store_dword v13, off, s[64:67], 0 offset:260 ; 4-byte Folded Spill
	v_fma_f64 v[10:11], v[181:182], s[10:11], v[8:9]
	v_fma_f64 v[8:9], v[181:182], s[10:11], -v[8:9]
	v_mul_f64 v[217:218], v[207:208], s[8:9]
	v_mul_f64 v[249:250], v[164:165], s[58:59]
	;; [unrolled: 1-line block ×3, first 2 shown]
	s_mov_b32 s57, 0x3fe58eea
	v_add_f64 v[22:23], v[102:103], v[22:23]
	s_mov_b32 s40, 0x75d4884
	v_add_f64 v[10:11], v[100:101], v[10:11]
	v_add_f64 v[8:9], v[100:101], v[8:9]
	s_mov_b32 s49, 0x3fe0d888
	s_mov_b32 s48, s18
	;; [unrolled: 1-line block ×3, first 2 shown]
	v_add_f64 v[209:210], v[134:135], -v[46:47]
	s_mov_b32 s61, 0x3fefdd0d
	s_mov_b32 s60, s34
	v_add_f64 v[10:11], v[26:27], v[10:11]
	v_mul_f64 v[26:27], v[189:190], s[26:27]
	v_add_f64 v[8:9], v[24:25], v[8:9]
	v_add_f64 v[213:214], v[44:45], v[132:133]
	v_add_f64 v[219:220], v[132:133], -v[44:45]
	v_mul_f64 v[54:55], v[209:210], s[60:61]
	v_mul_f64 v[14:15], v[215:216], s[26:27]
	s_mov_b32 s45, 0xbfe58eea
	s_mov_b32 s44, s56
	v_fma_f64 v[24:25], v[199:200], s[42:43], v[26:27]
	v_fma_f64 v[28:29], v[199:200], s[28:29], v[26:27]
	v_add_f64 v[227:228], v[142:143], -v[98:99]
	v_add_f64 v[221:222], v[96:97], v[140:141]
	v_add_f64 v[223:224], v[98:99], v[142:143]
	v_add_f64 v[225:226], v[140:141], -v[96:97]
	s_mov_b32 s51, 0xbfeca52d
	s_mov_b32 s50, s38
	v_add_f64 v[20:21], v[24:25], v[20:21]
	v_fma_f64 v[24:25], v[195:196], s[26:27], -v[50:51]
	v_add_f64 v[22:23], v[28:29], v[22:23]
	v_mul_f64 v[170:171], v[227:228], s[44:45]
	v_add_f64 v[235:236], v[138:139], -v[114:115]
	v_add_f64 v[229:230], v[136:137], v[112:113]
	v_add_f64 v[231:232], v[138:139], v[114:115]
	v_add_f64 v[233:234], v[136:137], -v[112:113]
	s_mov_b32 s55, 0xbfeec746
	v_add_f64 v[0:1], v[24:25], v[0:1]
	v_fma_f64 v[24:25], v[203:204], s[28:29], v[176:177]
	s_mov_b32 s54, s36
	v_add_f64 v[243:244], v[126:127], -v[118:119]
	v_add_f64 v[237:238], v[124:125], v[116:117]
	v_add_f64 v[239:240], v[126:127], v[118:119]
	v_add_f64 v[241:242], v[124:125], -v[116:117]
	v_add_f64 v[2:3], v[24:25], v[2:3]
	v_fma_f64 v[24:25], v[195:196], s[30:31], -v[166:167]
	v_add_f64 v[4:5], v[24:25], v[4:5]
	v_fma_f64 v[24:25], v[203:204], s[34:35], v[251:252]
	v_add_f64 v[6:7], v[24:25], v[6:7]
	v_mul_f64 v[24:25], v[162:163], s[18:19]
	v_fma_f64 v[26:27], v[195:196], s[8:9], v[24:25]
	v_fma_f64 v[24:25], v[195:196], s[8:9], -v[24:25]
	v_add_f64 v[10:11], v[26:27], v[10:11]
	v_mul_f64 v[26:27], v[197:198], s[8:9]
	v_add_f64 v[8:9], v[24:25], v[8:9]
	v_fma_f64 v[24:25], v[203:204], s[18:19], v[26:27]
	v_fma_f64 v[28:29], v[203:204], s[48:49], v[26:27]
	v_add_f64 v[20:21], v[24:25], v[20:21]
	v_fma_f64 v[24:25], v[205:206], s[8:9], -v[168:169]
	v_add_f64 v[22:23], v[28:29], v[22:23]
	v_add_f64 v[0:1], v[24:25], v[0:1]
	v_fma_f64 v[24:25], v[211:212], s[18:19], v[217:218]
	v_add_f64 v[2:3], v[24:25], v[2:3]
	v_fma_f64 v[24:25], v[205:206], s[2:3], -v[249:250]
	v_add_f64 v[4:5], v[24:25], v[4:5]
	v_fma_f64 v[24:25], v[211:212], s[58:59], v[253:254]
	v_add_f64 v[6:7], v[24:25], v[6:7]
	v_mul_f64 v[24:25], v[164:165], s[56:57]
	v_fma_f64 v[26:27], v[205:206], s[40:41], v[24:25]
	v_fma_f64 v[24:25], v[205:206], s[40:41], -v[24:25]
	v_add_f64 v[10:11], v[26:27], v[10:11]
	v_mul_f64 v[26:27], v[207:208], s[40:41]
	v_add_f64 v[8:9], v[24:25], v[8:9]
	v_fma_f64 v[24:25], v[211:212], s[56:57], v[26:27]
	v_fma_f64 v[28:29], v[211:212], s[44:45], v[26:27]
	v_add_f64 v[20:21], v[24:25], v[20:21]
	v_fma_f64 v[24:25], v[213:214], s[30:31], -v[54:55]
	v_add_f64 v[22:23], v[28:29], v[22:23]
	v_add_f64 v[0:1], v[24:25], v[0:1]
	v_fma_f64 v[24:25], v[219:220], s[60:61], v[12:13]
	v_mul_f64 v[12:13], v[209:210], s[28:29]
	buffer_store_dword v12, off, s[64:67], 0 offset:272 ; 4-byte Folded Spill
	s_nop 0
	buffer_store_dword v13, off, s[64:67], 0 offset:276 ; 4-byte Folded Spill
	buffer_store_dword v14, off, s[64:67], 0 offset:280 ; 4-byte Folded Spill
	s_nop 0
	buffer_store_dword v15, off, s[64:67], 0 offset:284 ; 4-byte Folded Spill
	v_add_f64 v[2:3], v[24:25], v[2:3]
	s_waitcnt vmcnt(0)
	s_barrier
	v_fma_f64 v[24:25], v[213:214], s[26:27], -v[12:13]
	v_mul_f64 v[12:13], v[243:244], s[60:61]
	v_add_f64 v[4:5], v[24:25], v[4:5]
	v_fma_f64 v[24:25], v[219:220], s[28:29], v[14:15]
	v_fma_f64 v[14:15], v[237:238], s[30:31], v[12:13]
	v_fma_f64 v[12:13], v[237:238], s[30:31], -v[12:13]
	v_add_f64 v[6:7], v[24:25], v[6:7]
	v_mul_f64 v[24:25], v[209:210], s[16:17]
	v_fma_f64 v[26:27], v[213:214], s[2:3], v[24:25]
	v_add_f64 v[10:11], v[26:27], v[10:11]
	v_mul_f64 v[26:27], v[215:216], s[2:3]
	v_fma_f64 v[28:29], v[219:220], s[58:59], v[26:27]
	v_add_f64 v[28:29], v[28:29], v[22:23]
	v_fma_f64 v[22:23], v[213:214], s[2:3], -v[24:25]
	v_mul_f64 v[24:25], v[223:224], s[10:11]
	v_add_f64 v[8:9], v[22:23], v[8:9]
	v_fma_f64 v[22:23], v[219:220], s[16:17], v[26:27]
	v_add_f64 v[26:27], v[22:23], v[20:21]
	v_mul_f64 v[20:21], v[223:224], s[40:41]
	v_fma_f64 v[22:23], v[221:222], s[40:41], -v[170:171]
	v_add_f64 v[0:1], v[22:23], v[0:1]
	v_fma_f64 v[22:23], v[225:226], s[44:45], v[20:21]
	v_add_f64 v[2:3], v[22:23], v[2:3]
	v_mul_f64 v[22:23], v[227:228], s[20:21]
	v_fma_f64 v[30:31], v[221:222], s[10:11], -v[22:23]
	v_add_f64 v[4:5], v[30:31], v[4:5]
	v_fma_f64 v[30:31], v[225:226], s[20:21], v[24:25]
	v_add_f64 v[6:7], v[30:31], v[6:7]
	v_mul_f64 v[30:31], v[227:228], s[38:39]
	v_fma_f64 v[144:145], v[221:222], s[24:25], v[30:31]
	v_add_f64 v[10:11], v[144:145], v[10:11]
	v_mul_f64 v[144:145], v[223:224], s[24:25]
	v_fma_f64 v[146:147], v[225:226], s[50:51], v[144:145]
	v_add_f64 v[146:147], v[146:147], v[28:29]
	v_fma_f64 v[28:29], v[221:222], s[24:25], -v[30:31]
	v_add_f64 v[8:9], v[28:29], v[8:9]
	v_fma_f64 v[28:29], v[225:226], s[38:39], v[144:145]
	v_add_f64 v[144:145], v[28:29], v[26:27]
	v_mul_f64 v[26:27], v[235:236], s[20:21]
	v_mul_f64 v[28:29], v[231:232], s[10:11]
	v_fma_f64 v[30:31], v[229:230], s[10:11], -v[26:27]
	v_add_f64 v[148:149], v[30:31], v[0:1]
	v_fma_f64 v[0:1], v[233:234], s[20:21], v[28:29]
	v_mul_f64 v[30:31], v[235:236], s[56:57]
	v_add_f64 v[150:151], v[0:1], v[2:3]
	v_mul_f64 v[0:1], v[231:232], s[40:41]
	v_fma_f64 v[2:3], v[229:230], s[40:41], -v[30:31]
	v_add_f64 v[152:153], v[2:3], v[4:5]
	v_fma_f64 v[2:3], v[233:234], s[56:57], v[0:1]
	v_add_f64 v[154:155], v[2:3], v[6:7]
	v_mul_f64 v[2:3], v[235:236], s[54:55]
	v_fma_f64 v[4:5], v[229:230], s[22:23], v[2:3]
	v_fma_f64 v[2:3], v[229:230], s[22:23], -v[2:3]
	v_add_f64 v[10:11], v[4:5], v[10:11]
	v_mul_f64 v[4:5], v[231:232], s[22:23]
	v_add_f64 v[156:157], v[2:3], v[8:9]
	v_mul_f64 v[8:9], v[239:240], s[22:23]
	v_fma_f64 v[2:3], v[233:234], s[54:55], v[4:5]
	v_fma_f64 v[6:7], v[233:234], s[36:37], v[4:5]
	v_mul_f64 v[4:5], v[239:240], s[24:25]
	v_add_f64 v[156:157], v[12:13], v[156:157]
	v_add_f64 v[158:159], v[2:3], v[144:145]
	v_mul_f64 v[2:3], v[243:244], s[38:39]
	v_add_f64 v[146:147], v[6:7], v[146:147]
	v_fma_f64 v[6:7], v[237:238], s[24:25], -v[2:3]
	v_add_f64 v[148:149], v[6:7], v[148:149]
	v_fma_f64 v[6:7], v[241:242], s[38:39], v[4:5]
	v_add_f64 v[150:151], v[6:7], v[150:151]
	v_mul_f64 v[6:7], v[243:244], s[54:55]
	v_fma_f64 v[144:145], v[237:238], s[22:23], -v[6:7]
	v_add_f64 v[152:153], v[144:145], v[152:153]
	v_fma_f64 v[144:145], v[241:242], s[54:55], v[8:9]
	v_add_f64 v[154:155], v[144:145], v[154:155]
	v_add_f64 v[144:145], v[14:15], v[10:11]
	v_mul_f64 v[10:11], v[239:240], s[30:31]
	v_fma_f64 v[14:15], v[241:242], s[34:35], v[10:11]
	v_fma_f64 v[10:11], v[241:242], s[60:61], v[10:11]
	v_add_f64 v[146:147], v[14:15], v[146:147]
	v_add_f64 v[158:159], v[10:11], v[158:159]
	s_and_saveexec_b64 s[52:53], vcc
	s_cbranch_execz .LBB0_17
; %bb.16:
	buffer_store_dword v227, off, s[64:67], 0 offset:336 ; 4-byte Folded Spill
	s_nop 0
	buffer_store_dword v228, off, s[64:67], 0 offset:340 ; 4-byte Folded Spill
	v_mov_b32_e32 v228, v55
	v_mov_b32_e32 v227, v54
	v_mov_b32_e32 v54, v253
	v_mul_f64 v[10:11], v[183:184], s[18:19]
	v_mov_b32_e32 v55, v254
	v_mul_f64 v[253:254], v[181:182], s[8:9]
	v_mul_f64 v[14:15], v[183:184], s[16:17]
	buffer_store_dword v16, off, s[64:67], 0 offset:304 ; 4-byte Folded Spill
	s_nop 0
	buffer_store_dword v17, off, s[64:67], 0 offset:308 ; 4-byte Folded Spill
	buffer_store_dword v18, off, s[64:67], 0 offset:312 ; 4-byte Folded Spill
	;; [unrolled: 1-line block ×4, first 2 shown]
	s_nop 0
	buffer_store_dword v184, off, s[64:67], 0 offset:372 ; 4-byte Folded Spill
	buffer_store_dword v209, off, s[64:67], 0 offset:344 ; 4-byte Folded Spill
	s_nop 0
	buffer_store_dword v210, off, s[64:67], 0 offset:348 ; 4-byte Folded Spill
	buffer_store_dword v179, off, s[64:67], 0 offset:288 ; 4-byte Folded Spill
	;; [unrolled: 1-line block ×4, first 2 shown]
	s_nop 0
	buffer_store_dword v163, off, s[64:67], 0 offset:364 ; 4-byte Folded Spill
	buffer_store_dword v164, off, s[64:67], 0 offset:352 ; 4-byte Folded Spill
	s_nop 0
	buffer_store_dword v165, off, s[64:67], 0 offset:356 ; 4-byte Folded Spill
	v_mov_b32_e32 v184, v169
	v_mov_b32_e32 v165, v95
	v_mov_b32_e32 v183, v168
	v_mov_b32_e32 v169, v51
	v_mov_b32_e32 v164, v94
	v_mov_b32_e32 v163, v93
	v_mov_b32_e32 v162, v92
	v_mov_b32_e32 v93, v91
	v_mov_b32_e32 v168, v50
	v_mov_b32_e32 v50, v174
	v_mov_b32_e32 v210, v177
	v_mov_b32_e32 v92, v90
	v_mov_b32_e32 v91, v89
	v_mov_b32_e32 v90, v88
	v_mov_b32_e32 v89, v87
	v_mov_b32_e32 v51, v175
	v_mul_f64 v[174:175], v[187:188], s[24:25]
	v_mov_b32_e32 v209, v176
	v_mul_f64 v[176:177], v[199:200], s[38:39]
	v_add_f64 v[10:11], v[193:194], -v[10:11]
	v_mov_b32_e32 v88, v86
	v_mov_b32_e32 v87, v85
	;; [unrolled: 1-line block ×4, first 2 shown]
	v_add_f64 v[172:173], v[253:254], v[172:173]
	v_mov_b32_e32 v84, v82
	v_mov_b32_e32 v83, v81
	;; [unrolled: 1-line block ×30, first 2 shown]
	buffer_store_dword v96, off, s[64:67], 0 offset:320 ; 4-byte Folded Spill
	s_nop 0
	buffer_store_dword v97, off, s[64:67], 0 offset:324 ; 4-byte Folded Spill
	buffer_store_dword v98, off, s[64:67], 0 offset:328 ; 4-byte Folded Spill
	buffer_store_dword v99, off, s[64:67], 0 offset:332 ; 4-byte Folded Spill
	buffer_store_dword v32, off, s[64:67], 0 offset:4 ; 4-byte Folded Spill
	s_nop 0
	buffer_store_dword v33, off, s[64:67], 0 offset:8 ; 4-byte Folded Spill
	buffer_store_dword v34, off, s[64:67], 0 offset:12 ; 4-byte Folded Spill
	buffer_store_dword v35, off, s[64:67], 0 offset:16 ; 4-byte Folded Spill
	buffer_store_dword v36, off, s[64:67], 0 offset:20 ; 4-byte Folded Spill
	s_nop 0
	buffer_store_dword v37, off, s[64:67], 0 offset:24 ; 4-byte Folded Spill
	buffer_store_dword v38, off, s[64:67], 0 offset:28 ; 4-byte Folded Spill
	buffer_store_dword v39, off, s[64:67], 0 offset:32 ; 4-byte Folded Spill
	buffer_store_dword v40, off, s[64:67], 0 offset:36 ; 4-byte Folded Spill
	s_nop 0
	buffer_store_dword v41, off, s[64:67], 0 offset:40 ; 4-byte Folded Spill
	buffer_store_dword v42, off, s[64:67], 0 offset:44 ; 4-byte Folded Spill
	buffer_store_dword v43, off, s[64:67], 0 offset:48 ; 4-byte Folded Spill
	buffer_store_dword v44, off, s[64:67], 0 offset:52 ; 4-byte Folded Spill
	s_nop 0
	buffer_store_dword v45, off, s[64:67], 0 offset:56 ; 4-byte Folded Spill
	buffer_store_dword v46, off, s[64:67], 0 offset:60 ; 4-byte Folded Spill
	buffer_store_dword v47, off, s[64:67], 0 offset:64 ; 4-byte Folded Spill
	v_mov_b32_e32 v57, v246
	v_mov_b32_e32 v58, v247
	;; [unrolled: 1-line block ×3, first 2 shown]
	v_mul_f64 v[245:246], v[195:196], s[30:31]
	v_mul_f64 v[247:248], v[203:204], s[34:35]
	v_add_f64 v[176:177], v[201:202], -v[176:177]
	v_add_f64 v[10:11], v[102:103], v[10:11]
	v_add_f64 v[174:175], v[174:175], v[52:53]
	;; [unrolled: 1-line block ×3, first 2 shown]
	v_mul_f64 v[32:33], v[205:206], s[2:3]
	v_mul_f64 v[34:35], v[211:212], s[58:59]
	v_add_f64 v[245:246], v[245:246], v[166:167]
	v_add_f64 v[38:39], v[94:95], -v[247:248]
	buffer_load_dword v94, off, s[64:67], 0 offset:248 ; 4-byte Folded Reload
	buffer_load_dword v95, off, s[64:67], 0 offset:252 ; 4-byte Folded Reload
	v_add_f64 v[10:11], v[176:177], v[10:11]
	buffer_load_dword v98, off, s[64:67], 0 offset:280 ; 4-byte Folded Reload
	buffer_load_dword v99, off, s[64:67], 0 offset:284 ; 4-byte Folded Reload
	v_add_f64 v[46:47], v[174:175], v[46:47]
	v_add_f64 v[32:33], v[32:33], v[249:250]
	v_add_f64 v[34:35], v[54:55], -v[34:35]
	v_mul_f64 v[12:13], v[181:182], s[2:3]
	v_mul_f64 v[16:17], v[187:188], s[22:23]
	;; [unrolled: 1-line block ×3, first 2 shown]
	v_add_f64 v[10:11], v[38:39], v[10:11]
	v_add_f64 v[14:15], v[48:49], -v[14:15]
	v_add_f64 v[38:39], v[245:246], v[46:47]
	v_mul_f64 v[178:179], v[195:196], s[26:27]
	v_mul_f64 v[185:186], v[203:204], s[28:29]
	v_add_f64 v[12:13], v[12:13], v[251:252]
	v_add_f64 v[16:17], v[16:17], v[50:51]
	v_add_f64 v[18:19], v[160:161], -v[18:19]
	v_add_f64 v[10:11], v[34:35], v[10:11]
	buffer_load_dword v34, off, s[64:67], 0 offset:272 ; 4-byte Folded Reload
	buffer_load_dword v35, off, s[64:67], 0 offset:276 ; 4-byte Folded Reload
	v_add_f64 v[32:33], v[32:33], v[38:39]
	buffer_load_dword v38, off, s[64:67], 0 offset:256 ; 4-byte Folded Reload
	buffer_load_dword v39, off, s[64:67], 0 offset:260 ; 4-byte Folded Reload
	v_add_f64 v[14:15], v[102:103], v[14:15]
	v_add_f64 v[12:13], v[100:101], v[12:13]
	v_mul_f64 v[96:97], v[205:206], s[8:9]
	v_mul_f64 v[193:194], v[211:212], s[18:19]
	;; [unrolled: 1-line block ×3, first 2 shown]
	v_add_f64 v[185:186], v[209:210], -v[185:186]
	v_add_f64 v[160:161], v[178:179], v[168:169]
	v_mul_f64 v[36:37], v[213:214], s[30:31]
	v_add_f64 v[14:15], v[18:19], v[14:15]
	v_add_f64 v[12:13], v[16:17], v[12:13]
	v_mul_f64 v[247:248], v[219:220], s[60:61]
	v_mul_f64 v[253:254], v[213:214], s[26:27]
	v_add_f64 v[46:47], v[217:218], -v[193:194]
	v_mul_f64 v[40:41], v[221:222], s[40:41]
	v_mul_f64 v[42:43], v[225:226], s[44:45]
	;; [unrolled: 1-line block ×3, first 2 shown]
	v_add_f64 v[14:15], v[185:186], v[14:15]
	v_add_f64 v[12:13], v[160:161], v[12:13]
	v_mul_f64 v[172:173], v[225:226], s[20:21]
	v_add_f64 v[36:37], v[36:37], v[227:228]
	v_mul_f64 v[48:49], v[229:230], s[10:11]
	v_mul_f64 v[50:51], v[233:234], s[20:21]
	;; [unrolled: 1-line block ×4, first 2 shown]
	v_add_f64 v[14:15], v[46:47], v[14:15]
	v_mul_f64 v[16:17], v[241:242], s[54:55]
	v_add_f64 v[24:25], v[24:25], -v[172:173]
	v_add_f64 v[22:23], v[44:45], v[22:23]
	v_add_f64 v[20:21], v[20:21], -v[42:43]
	v_mul_f64 v[18:19], v[237:238], s[24:25]
	v_mul_f64 v[54:55], v[241:242], s[38:39]
	;; [unrolled: 1-line block ×3, first 2 shown]
	v_add_f64 v[0:1], v[0:1], -v[52:53]
	v_add_f64 v[28:29], v[28:29], -v[50:51]
	;; [unrolled: 1-line block ×3, first 2 shown]
	v_add_f64 v[16:17], v[48:49], v[26:27]
	buffer_load_dword v42, off, s[64:67], 0 offset:368 ; 4-byte Folded Reload
	buffer_load_dword v43, off, s[64:67], 0 offset:372 ; 4-byte Folded Reload
	v_add_f64 v[2:3], v[18:19], v[2:3]
	v_add_f64 v[4:5], v[4:5], -v[54:55]
	v_add_f64 v[6:7], v[178:179], v[6:7]
	v_mul_f64 v[26:27], v[211:212], s[50:51]
	v_mul_f64 v[185:186], v[243:244], s[42:43]
	s_waitcnt vmcnt(8)
	v_mov_b32_e32 v167, v95
	v_mov_b32_e32 v166, v94
	s_waitcnt vmcnt(6)
	v_add_f64 v[168:169], v[98:99], -v[176:177]
	v_add_f64 v[176:177], v[96:97], v[183:184]
	v_add_f64 v[10:11], v[168:169], v[10:11]
	;; [unrolled: 1-line block ×3, first 2 shown]
	s_waitcnt vmcnt(4)
	v_add_f64 v[34:35], v[253:254], v[34:35]
	v_add_f64 v[12:13], v[36:37], v[12:13]
	s_waitcnt vmcnt(2)
	v_add_f64 v[38:39], v[38:39], -v[247:248]
	v_add_f64 v[10:11], v[24:25], v[10:11]
	v_add_f64 v[24:25], v[174:175], v[30:31]
	v_mov_b32_e32 v248, v59
	v_mov_b32_e32 v247, v58
	;; [unrolled: 1-line block ×3, first 2 shown]
	v_add_f64 v[32:33], v[34:35], v[32:33]
	v_add_f64 v[34:35], v[40:41], v[170:171]
	;; [unrolled: 1-line block ×4, first 2 shown]
	v_mov_b32_e32 v245, v56
	v_mov_b32_e32 v56, v60
	;; [unrolled: 1-line block ×3, first 2 shown]
	v_add_f64 v[22:23], v[22:23], v[32:33]
	v_add_f64 v[12:13], v[34:35], v[12:13]
	;; [unrolled: 1-line block ×4, first 2 shown]
	v_mul_f64 v[20:21], v[60:61], s[48:49]
	v_fma_f64 v[34:35], v[207:208], s[24:25], v[26:27]
	v_mul_f64 v[0:1], v[233:234], s[28:29]
	v_fma_f64 v[26:27], v[207:208], s[24:25], -v[26:27]
	v_add_f64 v[10:11], v[24:25], v[22:23]
	v_add_f64 v[12:13], v[16:17], v[12:13]
	;; [unrolled: 1-line block ×3, first 2 shown]
	v_fma_f64 v[32:33], v[187:188], s[8:9], -v[20:21]
	v_fma_f64 v[20:21], v[187:188], s[8:9], v[20:21]
	v_add_f64 v[249:250], v[6:7], v[10:11]
	v_add_f64 v[6:7], v[2:3], v[12:13]
	;; [unrolled: 1-line block ×3, first 2 shown]
	buffer_store_dword v6, off, s[64:67], 0 offset:256 ; 4-byte Folded Spill
	s_nop 0
	buffer_store_dword v7, off, s[64:67], 0 offset:260 ; 4-byte Folded Spill
	buffer_store_dword v8, off, s[64:67], 0 offset:264 ; 4-byte Folded Spill
	;; [unrolled: 1-line block ×3, first 2 shown]
	buffer_load_dword v58, off, s[64:67], 0 offset:360 ; 4-byte Folded Reload
	buffer_load_dword v59, off, s[64:67], 0 offset:364 ; 4-byte Folded Reload
	;; [unrolled: 1-line block ×8, first 2 shown]
	s_waitcnt vmcnt(12)
	v_mul_f64 v[16:17], v[42:43], s[54:55]
	v_mul_f64 v[4:5], v[199:200], s[48:49]
	;; [unrolled: 1-line block ×6, first 2 shown]
	v_fma_f64 v[14:15], v[231:232], s[26:27], v[0:1]
	v_fma_f64 v[0:1], v[231:232], s[26:27], -v[0:1]
	v_fma_f64 v[6:7], v[191:192], s[22:23], v[16:17]
	v_fma_f64 v[18:19], v[189:190], s[8:9], v[4:5]
	v_fma_f64 v[22:23], v[181:182], s[22:23], -v[2:3]
	v_fma_f64 v[28:29], v[197:198], s[40:41], v[12:13]
	v_fma_f64 v[16:17], v[191:192], s[22:23], -v[16:17]
	v_fma_f64 v[4:5], v[189:190], s[8:9], -v[4:5]
	v_fma_f64 v[2:3], v[181:182], s[22:23], v[2:3]
	v_fma_f64 v[12:13], v[197:198], s[40:41], -v[12:13]
	v_add_f64 v[6:7], v[102:103], v[6:7]
	v_fma_f64 v[24:25], v[223:224], s[30:31], v[8:9]
	v_add_f64 v[22:23], v[100:101], v[22:23]
	v_fma_f64 v[8:9], v[223:224], s[30:31], -v[8:9]
	v_add_f64 v[16:17], v[102:103], v[16:17]
	v_mov_b32_e32 v184, v43
	v_add_f64 v[2:3], v[100:101], v[2:3]
	v_mov_b32_e32 v183, v42
	v_add_f64 v[6:7], v[18:19], v[6:7]
	v_mul_f64 v[18:19], v[219:220], s[20:21]
	v_add_f64 v[22:23], v[32:33], v[22:23]
	v_add_f64 v[4:5], v[4:5], v[16:17]
	v_add_f64 v[2:3], v[20:21], v[2:3]
	v_mul_f64 v[20:21], v[235:236], s[28:29]
	v_add_f64 v[6:7], v[28:29], v[6:7]
	v_fma_f64 v[28:29], v[215:216], s[10:11], v[18:19]
	v_fma_f64 v[18:19], v[215:216], s[10:11], -v[18:19]
	v_add_f64 v[4:5], v[12:13], v[4:5]
	v_add_f64 v[6:7], v[34:35], v[6:7]
	;; [unrolled: 1-line block ×5, first 2 shown]
	v_mul_f64 v[18:19], v[243:244], s[16:17]
	v_add_f64 v[6:7], v[24:25], v[6:7]
	v_add_f64 v[4:5], v[8:9], v[4:5]
	v_fma_f64 v[8:9], v[237:238], s[2:3], -v[18:19]
	v_fma_f64 v[18:19], v[237:238], s[2:3], v[18:19]
	v_add_f64 v[6:7], v[14:15], v[6:7]
	v_add_f64 v[0:1], v[0:1], v[4:5]
	v_mul_f64 v[4:5], v[199:200], s[20:21]
	s_waitcnt vmcnt(6)
	v_mul_f64 v[30:31], v[58:59], s[56:57]
	s_waitcnt vmcnt(4)
	;; [unrolled: 2-line block ×4, first 2 shown]
	v_mul_f64 v[12:13], v[96:97], s[60:61]
	v_fma_f64 v[38:39], v[195:196], s[40:41], -v[30:31]
	v_fma_f64 v[32:33], v[205:206], s[24:25], -v[36:37]
	;; [unrolled: 1-line block ×3, first 2 shown]
	v_fma_f64 v[28:29], v[195:196], s[40:41], v[30:31]
	v_fma_f64 v[26:27], v[221:222], s[30:31], -v[12:13]
	v_fma_f64 v[24:25], v[205:206], s[24:25], v[36:37]
	v_fma_f64 v[16:17], v[213:214], s[10:11], v[16:17]
	;; [unrolled: 1-line block ×3, first 2 shown]
	v_add_f64 v[22:23], v[38:39], v[22:23]
	v_mul_f64 v[36:37], v[40:41], s[50:51]
	v_add_f64 v[2:3], v[28:29], v[2:3]
	v_fma_f64 v[28:29], v[229:230], s[26:27], -v[20:21]
	v_add_f64 v[22:23], v[32:33], v[22:23]
	v_mul_f64 v[32:33], v[160:161], s[42:43]
	v_add_f64 v[2:3], v[24:25], v[2:3]
	v_mul_f64 v[24:25], v[58:59], s[36:37]
	v_add_f64 v[22:23], v[34:35], v[22:23]
	v_fma_f64 v[38:39], v[205:206], s[26:27], -v[32:33]
	v_add_f64 v[2:3], v[16:17], v[2:3]
	v_fma_f64 v[34:35], v[195:196], s[22:23], -v[24:25]
	v_fma_f64 v[24:25], v[195:196], s[22:23], v[24:25]
	v_add_f64 v[22:23], v[26:27], v[22:23]
	v_fma_f64 v[26:27], v[239:240], s[2:3], v[10:11]
	v_fma_f64 v[10:11], v[239:240], s[2:3], -v[10:11]
	v_add_f64 v[2:3], v[12:13], v[2:3]
	v_mul_f64 v[12:13], v[60:61], s[20:21]
	v_mov_b32_e32 v60, v62
	v_mov_b32_e32 v61, v63
	;; [unrolled: 1-line block ×3, first 2 shown]
	v_add_f64 v[14:15], v[28:29], v[22:23]
	v_mul_f64 v[22:23], v[42:43], s[34:35]
	v_add_f64 v[170:171], v[26:27], v[6:7]
	v_mul_f64 v[6:7], v[166:167], s[34:35]
	v_add_f64 v[174:175], v[10:11], v[0:1]
	v_mul_f64 v[0:1], v[203:204], s[36:37]
	v_fma_f64 v[10:11], v[189:190], s[10:11], v[4:5]
	v_fma_f64 v[26:27], v[187:188], s[10:11], -v[12:13]
	v_add_f64 v[168:169], v[8:9], v[14:15]
	v_fma_f64 v[8:9], v[191:192], s[30:31], v[22:23]
	v_fma_f64 v[14:15], v[229:230], s[26:27], v[20:21]
	v_fma_f64 v[16:17], v[181:182], s[30:31], -v[6:7]
	v_fma_f64 v[22:23], v[191:192], s[30:31], -v[22:23]
	v_fma_f64 v[20:21], v[197:198], s[22:23], v[0:1]
	v_mov_b32_e32 v63, v65
	v_mov_b32_e32 v64, v66
	;; [unrolled: 1-line block ×3, first 2 shown]
	v_add_f64 v[8:9], v[102:103], v[8:9]
	v_add_f64 v[2:3], v[14:15], v[2:3]
	;; [unrolled: 1-line block ×3, first 2 shown]
	v_mul_f64 v[14:15], v[211:212], s[42:43]
	v_mov_b32_e32 v66, v68
	v_mov_b32_e32 v67, v69
	;; [unrolled: 1-line block ×3, first 2 shown]
	v_mul_f64 v[28:29], v[219:220], s[50:51]
	v_add_f64 v[8:9], v[10:11], v[8:9]
	v_fma_f64 v[4:5], v[189:190], s[10:11], -v[4:5]
	v_add_f64 v[16:17], v[26:27], v[16:17]
	v_fma_f64 v[30:31], v[207:208], s[26:27], v[14:15]
	v_add_f64 v[22:23], v[102:103], v[22:23]
	v_mov_b32_e32 v69, v71
	v_mov_b32_e32 v70, v72
	;; [unrolled: 1-line block ×3, first 2 shown]
	v_add_f64 v[8:9], v[20:21], v[8:9]
	v_mov_b32_e32 v72, v74
	v_add_f64 v[16:17], v[34:35], v[16:17]
	v_mov_b32_e32 v73, v75
	v_mov_b32_e32 v74, v76
	;; [unrolled: 1-line block ×24, first 2 shown]
	v_mul_f64 v[20:21], v[225:226], s[18:19]
	v_fma_f64 v[26:27], v[215:216], s[24:25], v[28:29]
	v_mov_b32_e32 v162, v40
	v_add_f64 v[8:9], v[30:31], v[8:9]
	v_mul_f64 v[40:41], v[96:97], s[18:19]
	v_fma_f64 v[42:43], v[213:214], s[24:25], -v[36:37]
	v_fma_f64 v[0:1], v[197:198], s[22:23], -v[0:1]
	v_add_f64 v[4:5], v[4:5], v[22:23]
	v_add_f64 v[16:17], v[38:39], v[16:17]
	v_mul_f64 v[30:31], v[233:234], s[58:59]
	v_fma_f64 v[34:35], v[223:224], s[8:9], v[20:21]
	v_add_f64 v[8:9], v[26:27], v[8:9]
	v_mul_f64 v[26:27], v[235:236], s[58:59]
	v_fma_f64 v[38:39], v[221:222], s[8:9], -v[40:41]
	v_fma_f64 v[14:15], v[207:208], s[26:27], -v[14:15]
	v_fma_f64 v[6:7], v[181:182], s[30:31], v[6:7]
	v_add_f64 v[0:1], v[0:1], v[4:5]
	v_add_f64 v[4:5], v[42:43], v[16:17]
	v_mul_f64 v[10:11], v[241:242], s[56:57]
	v_fma_f64 v[22:23], v[231:232], s[2:3], v[30:31]
	v_add_f64 v[8:9], v[34:35], v[8:9]
	v_mul_f64 v[16:17], v[243:244], s[56:57]
	v_fma_f64 v[34:35], v[229:230], s[2:3], -v[26:27]
	v_fma_f64 v[28:29], v[215:216], s[24:25], -v[28:29]
	v_fma_f64 v[12:13], v[187:188], s[10:11], v[12:13]
	v_add_f64 v[6:7], v[100:101], v[6:7]
	v_add_f64 v[0:1], v[14:15], v[0:1]
	v_add_f64 v[4:5], v[38:39], v[4:5]
	v_fma_f64 v[14:15], v[239:240], s[40:41], v[10:11]
	v_add_f64 v[8:9], v[22:23], v[8:9]
	v_fma_f64 v[22:23], v[237:238], s[40:41], -v[16:17]
	v_fma_f64 v[20:21], v[223:224], s[8:9], -v[20:21]
	v_add_f64 v[172:173], v[18:19], v[2:3]
	v_add_f64 v[6:7], v[12:13], v[6:7]
	;; [unrolled: 1-line block ×4, first 2 shown]
	v_mul_f64 v[12:13], v[183:184], s[50:51]
	v_add_f64 v[178:179], v[14:15], v[8:9]
	v_fma_f64 v[8:9], v[205:206], s[26:27], v[32:33]
	v_mul_f64 v[18:19], v[199:200], s[16:17]
	v_fma_f64 v[2:3], v[231:232], s[2:3], -v[30:31]
	v_add_f64 v[6:7], v[24:25], v[6:7]
	v_add_f64 v[0:1], v[20:21], v[0:1]
	;; [unrolled: 1-line block ×3, first 2 shown]
	v_fma_f64 v[4:5], v[239:240], s[40:41], -v[10:11]
	v_mul_f64 v[10:11], v[166:167], s[50:51]
	v_fma_f64 v[20:21], v[191:192], s[24:25], v[12:13]
	v_fma_f64 v[14:15], v[213:214], s[24:25], v[36:37]
	v_mul_f64 v[24:25], v[203:204], s[46:47]
	v_add_f64 v[6:7], v[8:9], v[6:7]
	v_mul_f64 v[8:9], v[56:57], s[16:17]
	v_fma_f64 v[28:29], v[189:190], s[2:3], v[18:19]
	v_add_f64 v[0:1], v[2:3], v[0:1]
	v_fma_f64 v[22:23], v[181:182], s[24:25], -v[10:11]
	v_add_f64 v[20:21], v[102:103], v[20:21]
	v_fma_f64 v[2:3], v[221:222], s[8:9], v[40:41]
	v_mul_f64 v[32:33], v[211:212], s[36:37]
	v_add_f64 v[6:7], v[14:15], v[6:7]
	v_fma_f64 v[14:15], v[229:230], s[2:3], v[26:27]
	v_mul_f64 v[26:27], v[58:59], s[46:47]
	v_fma_f64 v[30:31], v[187:188], s[2:3], -v[8:9]
	v_add_f64 v[22:23], v[100:101], v[22:23]
	v_fma_f64 v[34:35], v[197:198], s[10:11], v[24:25]
	v_add_f64 v[20:21], v[28:29], v[20:21]
	v_fma_f64 v[12:13], v[191:192], s[24:25], -v[12:13]
	v_add_f64 v[2:3], v[2:3], v[6:7]
	v_mul_f64 v[28:29], v[160:161], s[36:37]
	v_fma_f64 v[6:7], v[195:196], s[10:11], -v[26:27]
	v_fma_f64 v[36:37], v[207:208], s[22:23], v[32:33]
	v_add_f64 v[22:23], v[30:31], v[22:23]
	v_mul_f64 v[30:31], v[219:220], s[56:57]
	v_add_f64 v[20:21], v[34:35], v[20:21]
	v_fma_f64 v[18:19], v[189:190], s[2:3], -v[18:19]
	v_add_f64 v[12:13], v[102:103], v[12:13]
	v_mul_f64 v[34:35], v[162:163], s[56:57]
	v_fma_f64 v[38:39], v[205:206], s[22:23], -v[28:29]
	v_fma_f64 v[24:25], v[197:198], s[10:11], -v[24:25]
	v_add_f64 v[6:7], v[6:7], v[22:23]
	v_mul_f64 v[22:23], v[225:226], s[28:29]
	v_fma_f64 v[40:41], v[215:216], s[40:41], v[30:31]
	v_add_f64 v[20:21], v[36:37], v[20:21]
	v_add_f64 v[12:13], v[18:19], v[12:13]
	v_mul_f64 v[36:37], v[96:97], s[28:29]
	v_fma_f64 v[42:43], v[213:214], s[40:41], -v[34:35]
	v_mul_f64 v[18:19], v[233:234], s[34:35]
	v_add_f64 v[6:7], v[38:39], v[6:7]
	v_fma_f64 v[38:39], v[223:224], s[26:27], v[22:23]
	v_fma_f64 v[32:33], v[207:208], s[22:23], -v[32:33]
	v_add_f64 v[20:21], v[40:41], v[20:21]
	v_add_f64 v[12:13], v[24:25], v[12:13]
	v_mul_f64 v[40:41], v[235:236], s[34:35]
	v_fma_f64 v[44:45], v[221:222], s[26:27], -v[36:37]
	v_mul_f64 v[24:25], v[241:242], s[18:19]
	v_add_f64 v[6:7], v[42:43], v[6:7]
	v_fma_f64 v[42:43], v[231:232], s[30:31], v[18:19]
	v_fma_f64 v[30:31], v[215:216], s[40:41], -v[30:31]
	v_add_f64 v[20:21], v[38:39], v[20:21]
	v_add_f64 v[12:13], v[32:33], v[12:13]
	v_fma_f64 v[16:17], v[237:238], s[40:41], v[16:17]
	v_add_f64 v[14:15], v[14:15], v[2:3]
	v_mul_f64 v[38:39], v[243:244], s[18:19]
	v_fma_f64 v[46:47], v[229:230], s[30:31], -v[40:41]
	v_add_f64 v[6:7], v[44:45], v[6:7]
	v_fma_f64 v[32:33], v[239:240], s[8:9], v[24:25]
	v_add_f64 v[20:21], v[42:43], v[20:21]
	v_fma_f64 v[22:23], v[223:224], s[26:27], -v[22:23]
	v_add_f64 v[12:13], v[30:31], v[12:13]
	v_add_f64 v[2:3], v[4:5], v[0:1]
	;; [unrolled: 1-line block ×3, first 2 shown]
	v_fma_f64 v[10:11], v[181:182], s[24:25], v[10:11]
	v_mul_f64 v[16:17], v[183:184], s[44:45]
	v_fma_f64 v[42:43], v[237:238], s[8:9], -v[38:39]
	v_add_f64 v[30:31], v[46:47], v[6:7]
	v_add_f64 v[6:7], v[32:33], v[20:21]
	v_fma_f64 v[14:15], v[231:232], s[30:31], -v[18:19]
	v_add_f64 v[12:13], v[22:23], v[12:13]
	v_fma_f64 v[8:9], v[187:188], s[2:3], v[8:9]
	v_mul_f64 v[18:19], v[166:167], s[44:45]
	v_add_f64 v[10:11], v[100:101], v[10:11]
	v_fma_f64 v[20:21], v[239:240], s[8:9], -v[24:25]
	v_mul_f64 v[22:23], v[199:200], s[34:35]
	v_fma_f64 v[24:25], v[191:192], s[40:41], v[16:17]
	v_add_f64 v[4:5], v[42:43], v[30:31]
	v_add_f64 v[12:13], v[14:15], v[12:13]
	v_fma_f64 v[14:15], v[195:196], s[10:11], v[26:27]
	v_mul_f64 v[26:27], v[56:57], s[34:35]
	v_fma_f64 v[30:31], v[181:182], s[40:41], -v[18:19]
	v_add_f64 v[8:9], v[8:9], v[10:11]
	v_mul_f64 v[32:33], v[203:204], s[16:17]
	v_fma_f64 v[10:11], v[189:190], s[30:31], v[22:23]
	v_add_f64 v[24:25], v[102:103], v[24:25]
	v_fma_f64 v[28:29], v[205:206], s[22:23], v[28:29]
	v_mul_f64 v[42:43], v[58:59], s[16:17]
	v_fma_f64 v[44:45], v[187:188], s[30:31], -v[26:27]
	v_add_f64 v[30:31], v[100:101], v[30:31]
	v_add_f64 v[8:9], v[14:15], v[8:9]
	v_mul_f64 v[14:15], v[211:212], s[20:21]
	v_fma_f64 v[46:47], v[197:198], s[2:3], v[32:33]
	v_add_f64 v[10:11], v[10:11], v[24:25]
	v_fma_f64 v[24:25], v[213:214], s[40:41], v[34:35]
	v_mul_f64 v[34:35], v[160:161], s[20:21]
	v_fma_f64 v[48:49], v[195:196], s[2:3], -v[42:43]
	v_add_f64 v[30:31], v[44:45], v[30:31]
	v_add_f64 v[8:9], v[28:29], v[8:9]
	v_mul_f64 v[28:29], v[219:220], s[48:49]
	v_fma_f64 v[44:45], v[207:208], s[10:11], v[14:15]
	v_add_f64 v[10:11], v[46:47], v[10:11]
	v_fma_f64 v[36:37], v[221:222], s[26:27], v[36:37]
	v_mul_f64 v[46:47], v[162:163], s[48:49]
	v_fma_f64 v[50:51], v[205:206], s[10:11], -v[34:35]
	v_add_f64 v[30:31], v[48:49], v[30:31]
	v_add_f64 v[8:9], v[24:25], v[8:9]
	v_mul_f64 v[24:25], v[225:226], s[36:37]
	v_fma_f64 v[48:49], v[215:216], s[8:9], v[28:29]
	v_add_f64 v[10:11], v[44:45], v[10:11]
	v_fma_f64 v[40:41], v[229:230], s[30:31], v[40:41]
	v_fma_f64 v[52:53], v[213:214], s[8:9], -v[46:47]
	v_fma_f64 v[16:17], v[191:192], s[40:41], -v[16:17]
	v_add_f64 v[30:31], v[50:51], v[30:31]
	v_add_f64 v[8:9], v[36:37], v[8:9]
	v_mul_f64 v[36:37], v[233:234], s[38:39]
	v_fma_f64 v[50:51], v[223:224], s[22:23], v[24:25]
	v_add_f64 v[10:11], v[48:49], v[10:11]
	v_mul_f64 v[44:45], v[96:97], s[36:37]
	v_fma_f64 v[38:39], v[237:238], s[8:9], v[38:39]
	v_add_f64 v[16:17], v[102:103], v[16:17]
	v_add_f64 v[30:31], v[52:53], v[30:31]
	;; [unrolled: 1-line block ×3, first 2 shown]
	v_mul_f64 v[40:41], v[241:242], s[42:43]
	v_fma_f64 v[52:53], v[231:232], s[24:25], v[36:37]
	v_add_f64 v[50:51], v[50:51], v[10:11]
	v_add_f64 v[10:11], v[20:21], v[12:13]
	v_fma_f64 v[12:13], v[189:190], s[30:31], -v[22:23]
	v_fma_f64 v[18:19], v[181:182], s[40:41], v[18:19]
	v_fma_f64 v[22:23], v[231:232], s[24:25], -v[36:37]
	v_mul_f64 v[36:37], v[183:184], s[28:29]
	v_fma_f64 v[54:55], v[221:222], s[22:23], -v[44:45]
	v_add_f64 v[8:9], v[38:39], v[8:9]
	v_fma_f64 v[38:39], v[239:240], s[26:27], v[40:41]
	v_fma_f64 v[20:21], v[239:240], s[26:27], -v[40:41]
	v_fma_f64 v[32:33], v[197:198], s[2:3], -v[32:33]
	v_add_f64 v[12:13], v[12:13], v[16:17]
	v_fma_f64 v[16:17], v[223:224], s[22:23], -v[24:25]
	v_fma_f64 v[24:25], v[215:216], s[8:9], -v[28:29]
	v_fma_f64 v[26:27], v[187:188], s[30:31], v[26:27]
	v_add_f64 v[18:19], v[100:101], v[18:19]
	v_mul_f64 v[28:29], v[199:200], s[44:45]
	v_fma_f64 v[40:41], v[191:192], s[26:27], v[36:37]
	v_add_f64 v[30:31], v[54:55], v[30:31]
	v_fma_f64 v[14:15], v[207:208], s[10:11], -v[14:15]
	v_add_f64 v[12:13], v[32:33], v[12:13]
	v_fma_f64 v[32:33], v[195:196], s[2:3], v[42:43]
	v_add_f64 v[42:43], v[102:103], v[106:107]
	v_add_f64 v[54:55], v[100:101], v[104:105]
	;; [unrolled: 1-line block ×3, first 2 shown]
	v_mul_f64 v[26:27], v[203:204], s[50:51]
	v_fma_f64 v[104:105], v[189:190], s[40:41], v[28:29]
	v_add_f64 v[40:41], v[102:103], v[40:41]
	v_add_f64 v[12:13], v[14:15], v[12:13]
	v_fma_f64 v[14:15], v[205:206], s[10:11], v[34:35]
	v_add_f64 v[34:35], v[110:111], v[42:43]
	v_add_f64 v[42:43], v[108:109], v[54:55]
	v_add_f64 v[18:19], v[32:33], v[18:19]
	v_mul_f64 v[32:33], v[211:212], s[34:35]
	v_fma_f64 v[54:55], v[197:198], s[24:25], v[26:27]
	v_add_f64 v[40:41], v[104:105], v[40:41]
	v_add_f64 v[12:13], v[24:25], v[12:13]
	v_fma_f64 v[24:25], v[213:214], s[8:9], v[46:47]
	v_add_f64 v[50:51], v[52:53], v[50:51]
	v_fma_f64 v[52:53], v[237:238], s[26:27], -v[185:186]
	v_add_f64 v[14:15], v[14:15], v[18:19]
	v_mul_f64 v[18:19], v[219:220], s[54:55]
	v_fma_f64 v[46:47], v[207:208], s[30:31], v[32:33]
	v_add_f64 v[40:41], v[54:55], v[40:41]
	v_add_f64 v[12:13], v[16:17], v[12:13]
	v_fma_f64 v[16:17], v[221:222], s[22:23], v[44:45]
	v_add_f64 v[34:35], v[122:123], v[34:35]
	v_mul_f64 v[110:111], v[56:57], s[44:45]
	v_mul_f64 v[122:123], v[58:59], s[50:51]
	v_fma_f64 v[44:45], v[215:216], s[22:23], v[18:19]
	v_add_f64 v[42:43], v[120:121], v[42:43]
	v_add_f64 v[40:41], v[46:47], v[40:41]
	;; [unrolled: 1-line block ×3, first 2 shown]
	v_mul_f64 v[54:55], v[166:167], s[28:29]
	v_add_f64 v[34:35], v[130:131], v[34:35]
	v_fma_f64 v[36:37], v[191:192], s[26:27], -v[36:37]
	v_fma_f64 v[28:29], v[189:190], s[40:41], -v[28:29]
	v_mul_f64 v[108:109], v[160:161], s[34:35]
	v_add_f64 v[42:43], v[128:129], v[42:43]
	v_add_f64 v[40:41], v[44:45], v[40:41]
	v_fma_f64 v[44:45], v[237:238], s[26:27], v[185:186]
	buffer_load_dword v185, off, s[64:67], 0 offset:296 ; 4-byte Folded Reload
	buffer_load_dword v56, off, s[64:67], 0 offset:320 ; 4-byte Folded Reload
	;; [unrolled: 1-line block ×5, first 2 shown]
	v_add_f64 v[34:35], v[134:135], v[34:35]
	v_add_f64 v[20:21], v[20:21], v[12:13]
	v_fma_f64 v[120:121], v[181:182], s[26:27], v[54:55]
	v_add_f64 v[42:43], v[132:133], v[42:43]
	v_fma_f64 v[54:55], v[181:182], s[26:27], -v[54:55]
	v_add_f64 v[36:37], v[102:103], v[36:37]
	v_fma_f64 v[102:103], v[187:188], s[40:41], v[110:111]
	v_fma_f64 v[110:111], v[187:188], s[40:41], -v[110:111]
	v_add_f64 v[12:13], v[142:143], v[34:35]
	v_fma_f64 v[26:27], v[197:198], s[24:25], -v[26:27]
	v_mul_f64 v[104:105], v[96:97], s[16:17]
	v_add_f64 v[34:35], v[140:141], v[42:43]
	v_add_f64 v[54:55], v[100:101], v[54:55]
	;; [unrolled: 1-line block ×3, first 2 shown]
	v_fma_f64 v[36:37], v[195:196], s[24:25], v[122:123]
	v_mul_f64 v[106:107], v[162:163], s[54:55]
	v_add_f64 v[12:13], v[138:139], v[12:13]
	v_fma_f64 v[96:97], v[205:206], s[30:31], -v[108:109]
	v_fma_f64 v[32:33], v[207:208], s[30:31], -v[32:33]
	v_add_f64 v[34:35], v[136:137], v[34:35]
	v_add_f64 v[54:55], v[110:111], v[54:55]
	;; [unrolled: 1-line block ×3, first 2 shown]
	v_fma_f64 v[28:29], v[205:206], s[30:31], v[108:109]
	v_mul_f64 v[48:49], v[235:236], s[38:39]
	v_add_f64 v[12:13], v[126:127], v[12:13]
	v_add_f64 v[14:15], v[24:25], v[14:15]
	v_mul_f64 v[24:25], v[225:226], s[16:17]
	v_add_f64 v[34:35], v[124:125], v[34:35]
	v_fma_f64 v[18:19], v[215:216], s[22:23], -v[18:19]
	v_add_f64 v[26:27], v[32:33], v[26:27]
	v_fma_f64 v[32:33], v[213:214], s[22:23], v[106:107]
	v_fma_f64 v[22:23], v[229:230], s[24:25], v[48:49]
	v_add_f64 v[12:13], v[118:119], v[12:13]
	v_add_f64 v[14:15], v[16:17], v[14:15]
	v_mul_f64 v[16:17], v[233:234], s[18:19]
	v_add_f64 v[34:35], v[116:117], v[34:35]
	v_add_f64 v[116:117], v[100:101], v[120:121]
	v_fma_f64 v[46:47], v[223:224], s[2:3], v[24:25]
	v_fma_f64 v[24:25], v[223:224], s[2:3], -v[24:25]
	v_add_f64 v[18:19], v[18:19], v[26:27]
	v_add_f64 v[12:13], v[114:115], v[12:13]
	v_fma_f64 v[193:194], v[229:230], s[24:25], -v[48:49]
	v_mul_f64 v[48:49], v[235:236], s[18:19]
	v_add_f64 v[34:35], v[112:113], v[34:35]
	v_add_f64 v[100:101], v[102:103], v[116:117]
	v_fma_f64 v[102:103], v[195:196], s[24:25], -v[122:123]
	v_fma_f64 v[26:27], v[221:222], s[2:3], v[104:105]
	v_add_f64 v[42:43], v[22:23], v[14:15]
	v_mul_f64 v[14:15], v[241:242], s[20:21]
	v_fma_f64 v[22:23], v[231:232], s[8:9], v[16:17]
	v_fma_f64 v[16:17], v[231:232], s[8:9], -v[16:17]
	v_add_f64 v[18:19], v[24:25], v[18:19]
	v_add_f64 v[36:37], v[36:37], v[100:101]
	;; [unrolled: 1-line block ×4, first 2 shown]
	v_fma_f64 v[24:25], v[229:230], s[8:9], v[48:49]
	v_mul_f64 v[46:47], v[243:244], s[20:21]
	v_add_f64 v[30:31], v[193:194], v[30:31]
	v_add_f64 v[16:17], v[16:17], v[18:19]
	;; [unrolled: 1-line block ×3, first 2 shown]
	v_fma_f64 v[36:37], v[213:214], s[22:23], -v[106:107]
	v_add_f64 v[54:55], v[96:97], v[54:55]
	v_add_f64 v[40:41], v[22:23], v[40:41]
	v_fma_f64 v[18:19], v[237:238], s[10:11], v[46:47]
	v_fma_f64 v[46:47], v[237:238], s[10:11], -v[46:47]
	v_add_f64 v[28:29], v[32:33], v[28:29]
	v_fma_f64 v[32:33], v[221:222], s[2:3], -v[104:105]
	v_add_f64 v[36:37], v[36:37], v[54:55]
	v_add_f64 v[26:27], v[26:27], v[28:29]
	v_fma_f64 v[28:29], v[229:230], s[8:9], -v[48:49]
	v_add_f64 v[32:33], v[32:33], v[36:37]
	s_waitcnt vmcnt(0)
	v_add_f64 v[12:13], v[58:59], v[12:13]
	v_add_f64 v[34:35], v[56:57], v[34:35]
	buffer_load_dword v56, off, s[64:67], 0 offset:52 ; 4-byte Folded Reload
	buffer_load_dword v57, off, s[64:67], 0 offset:56 ; 4-byte Folded Reload
	;; [unrolled: 1-line block ×4, first 2 shown]
	v_fma_f64 v[36:37], v[239:240], s[10:11], -v[14:15]
	v_fma_f64 v[48:49], v[239:240], s[10:11], v[14:15]
	v_add_f64 v[26:27], v[24:25], v[26:27]
	v_add_f64 v[32:33], v[28:29], v[32:33]
	;; [unrolled: 1-line block ×6, first 2 shown]
	s_waitcnt vmcnt(0)
	v_add_f64 v[12:13], v[58:59], v[12:13]
	v_add_f64 v[34:35], v[56:57], v[34:35]
	buffer_load_dword v56, off, s[64:67], 0 offset:36 ; 4-byte Folded Reload
	buffer_load_dword v57, off, s[64:67], 0 offset:40 ; 4-byte Folded Reload
	;; [unrolled: 1-line block ×4, first 2 shown]
	s_waitcnt vmcnt(2)
	v_add_f64 v[34:35], v[56:57], v[34:35]
	buffer_load_dword v54, off, s[64:67], 0 offset:20 ; 4-byte Folded Reload
	buffer_load_dword v55, off, s[64:67], 0 offset:24 ; 4-byte Folded Reload
	;; [unrolled: 1-line block ×4, first 2 shown]
	s_waitcnt vmcnt(4)
	v_add_f64 v[12:13], v[58:59], v[12:13]
	s_waitcnt vmcnt(0)
	v_add_f64 v[12:13], v[56:57], v[12:13]
	v_add_f64 v[34:35], v[54:55], v[34:35]
	buffer_load_dword v54, off, s[64:67], 0 offset:4 ; 4-byte Folded Reload
	buffer_load_dword v55, off, s[64:67], 0 offset:8 ; 4-byte Folded Reload
	;; [unrolled: 1-line block ×10, first 2 shown]
	s_waitcnt vmcnt(6)
	v_add_f64 v[12:13], v[56:57], v[12:13]
	v_add_f64 v[34:35], v[54:55], v[34:35]
	s_waitcnt vmcnt(0)
	v_lshl_add_u32 v16, v17, 4, v16
	v_add_f64 v[24:25], v[24:25], v[12:13]
	v_add_f64 v[22:23], v[22:23], v[34:35]
	;; [unrolled: 1-line block ×4, first 2 shown]
	ds_write_b128 v16, v[22:25]
	ds_write_b128 v16, v[12:15] offset:16
	ds_write_b128 v16, v[18:21] offset:32
	;; [unrolled: 1-line block ×5, first 2 shown]
	buffer_load_dword v0, off, s[64:67], 0 offset:256 ; 4-byte Folded Reload
	buffer_load_dword v1, off, s[64:67], 0 offset:260 ; 4-byte Folded Reload
	buffer_load_dword v2, off, s[64:67], 0 offset:264 ; 4-byte Folded Reload
	buffer_load_dword v3, off, s[64:67], 0 offset:268 ; 4-byte Folded Reload
	s_waitcnt vmcnt(0)
	ds_write_b128 v16, v[0:3] offset:96
	ds_write_b128 v16, v[249:252] offset:112
	;; [unrolled: 1-line block ×8, first 2 shown]
	buffer_load_dword v179, off, s[64:67], 0 offset:288 ; 4-byte Folded Reload
	buffer_load_dword v178, off, s[64:67], 0 ; 4-byte Folded Reload
	v_add_f64 v[26:27], v[52:53], v[30:31]
	ds_write_b128 v16, v[4:7] offset:224
	ds_write_b128 v16, v[26:29] offset:240
	;; [unrolled: 1-line block ×3, first 2 shown]
.LBB0_17:
	s_or_b64 exec, exec, s[52:53]
	s_waitcnt vmcnt(0) lgkmcnt(0)
	s_barrier
	ds_read_b128 v[0:3], v255
	ds_read_b128 v[4:7], v255 offset:1088
	ds_read_b128 v[100:103], v255 offset:2992
	;; [unrolled: 1-line block ×7, first 2 shown]
	s_and_saveexec_b64 s[2:3], s[0:1]
	s_cbranch_execz .LBB0_19
; %bb.18:
	ds_read_b128 v[144:147], v255 offset:2176
	ds_read_b128 v[156:159], v255 offset:5168
	;; [unrolled: 1-line block ×4, first 2 shown]
.LBB0_19:
	s_or_b64 exec, exec, s[2:3]
	buffer_load_dword v34, off, s[64:67], 0 offset:168 ; 4-byte Folded Reload
	buffer_load_dword v35, off, s[64:67], 0 offset:172 ; 4-byte Folded Reload
	;; [unrolled: 1-line block ×12, first 2 shown]
	s_waitcnt vmcnt(8) lgkmcnt(5)
	v_mul_f64 v[20:21], v[36:37], v[102:103]
	v_mul_f64 v[22:23], v[36:37], v[100:101]
	s_waitcnt vmcnt(4) lgkmcnt(3)
	v_mul_f64 v[24:25], v[32:33], v[106:107]
	v_mul_f64 v[26:27], v[32:33], v[104:105]
	s_waitcnt vmcnt(0) lgkmcnt(1)
	v_mul_f64 v[28:29], v[56:57], v[98:99]
	v_fma_f64 v[20:21], v[34:35], v[100:101], v[20:21]
	v_fma_f64 v[22:23], v[34:35], v[102:103], -v[22:23]
	v_fma_f64 v[24:25], v[30:31], v[104:105], v[24:25]
	v_fma_f64 v[26:27], v[30:31], v[106:107], -v[26:27]
	v_mul_f64 v[30:31], v[56:57], v[96:97]
	buffer_load_dword v56, off, s[64:67], 0 offset:136 ; 4-byte Folded Reload
	buffer_load_dword v57, off, s[64:67], 0 offset:140 ; 4-byte Folded Reload
	;; [unrolled: 1-line block ×12, first 2 shown]
	v_fma_f64 v[28:29], v[54:55], v[96:97], v[28:29]
	s_waitcnt lgkmcnt(0)
	v_add_f64 v[24:25], v[0:1], -v[24:25]
	v_add_f64 v[26:27], v[2:3], -v[26:27]
	v_fma_f64 v[30:31], v[54:55], v[98:99], -v[30:31]
	s_waitcnt vmcnt(0)
	s_barrier
	v_add_f64 v[28:29], v[20:21], -v[28:29]
	v_add_f64 v[30:31], v[22:23], -v[30:31]
	v_mul_f64 v[32:33], v[58:59], v[10:11]
	v_mul_f64 v[34:35], v[58:59], v[8:9]
	;; [unrolled: 1-line block ×6, first 2 shown]
	v_fma_f64 v[8:9], v[56:57], v[8:9], v[32:33]
	v_fma_f64 v[10:11], v[56:57], v[10:11], -v[34:35]
	v_fma_f64 v[12:13], v[44:45], v[12:13], v[36:37]
	v_fma_f64 v[14:15], v[44:45], v[14:15], -v[38:39]
	;; [unrolled: 2-line block ×3, first 2 shown]
	v_add_f64 v[32:33], v[4:5], -v[12:13]
	v_add_f64 v[34:35], v[6:7], -v[14:15]
	;; [unrolled: 1-line block ×4, first 2 shown]
	v_fma_f64 v[16:17], v[0:1], 2.0, -v[24:25]
	v_fma_f64 v[18:19], v[2:3], 2.0, -v[26:27]
	;; [unrolled: 1-line block ×8, first 2 shown]
	v_add_f64 v[4:5], v[24:25], v[30:31]
	v_add_f64 v[6:7], v[26:27], -v[28:29]
	v_add_f64 v[0:1], v[16:17], -v[0:1]
	;; [unrolled: 1-line block ×3, first 2 shown]
	v_add_f64 v[12:13], v[32:33], v[12:13]
	v_add_f64 v[14:15], v[34:35], -v[14:15]
	v_add_f64 v[8:9], v[36:37], -v[8:9]
	;; [unrolled: 1-line block ×3, first 2 shown]
	v_fma_f64 v[20:21], v[24:25], 2.0, -v[4:5]
	v_fma_f64 v[22:23], v[26:27], 2.0, -v[6:7]
	;; [unrolled: 1-line block ×8, first 2 shown]
	ds_write_b128 v185, v[16:19]
	ds_write_b128 v185, v[20:23] offset:272
	ds_write_b128 v185, v[0:3] offset:544
	ds_write_b128 v185, v[4:7] offset:816
	ds_write_b128 v179, v[24:27]
	ds_write_b128 v179, v[28:31] offset:272
	ds_write_b128 v179, v[8:11] offset:544
	;; [unrolled: 1-line block ×3, first 2 shown]
	s_and_saveexec_b64 s[2:3], s[0:1]
	s_cbranch_execz .LBB0_21
; %bb.20:
	buffer_load_dword v12, off, s[64:67], 0 offset:232 ; 4-byte Folded Reload
	buffer_load_dword v13, off, s[64:67], 0 offset:236 ; 4-byte Folded Reload
	;; [unrolled: 1-line block ×4, first 2 shown]
	v_mul_f64 v[0:1], v[247:248], v[152:153]
	v_mul_f64 v[8:9], v[247:248], v[154:155]
	v_fma_f64 v[0:1], v[245:246], v[154:155], -v[0:1]
	v_fma_f64 v[8:9], v[245:246], v[152:153], v[8:9]
	v_add_f64 v[8:9], v[144:145], -v[8:9]
	s_waitcnt vmcnt(0)
	v_mul_f64 v[2:3], v[14:15], v[158:159]
	v_mul_f64 v[4:5], v[14:15], v[156:157]
	buffer_load_dword v14, off, s[64:67], 0 offset:216 ; 4-byte Folded Reload
	buffer_load_dword v15, off, s[64:67], 0 offset:220 ; 4-byte Folded Reload
	;; [unrolled: 1-line block ×4, first 2 shown]
	v_fma_f64 v[2:3], v[12:13], v[156:157], v[2:3]
	v_fma_f64 v[4:5], v[12:13], v[158:159], -v[4:5]
	v_add_f64 v[12:13], v[146:147], -v[0:1]
	s_waitcnt vmcnt(0)
	v_mul_f64 v[6:7], v[16:17], v[148:149]
	v_mul_f64 v[10:11], v[16:17], v[150:151]
	v_fma_f64 v[16:17], v[144:145], 2.0, -v[8:9]
	v_fma_f64 v[6:7], v[14:15], v[150:151], -v[6:7]
	v_fma_f64 v[10:11], v[14:15], v[148:149], v[10:11]
	v_fma_f64 v[14:15], v[146:147], 2.0, -v[12:13]
	v_add_f64 v[0:1], v[4:5], -v[6:7]
	v_add_f64 v[6:7], v[2:3], -v[10:11]
	v_fma_f64 v[4:5], v[4:5], 2.0, -v[0:1]
	v_fma_f64 v[10:11], v[2:3], 2.0, -v[6:7]
	v_add_f64 v[2:3], v[12:13], -v[6:7]
	v_add_f64 v[0:1], v[8:9], v[0:1]
	v_add_f64 v[6:7], v[14:15], -v[4:5]
	v_add_f64 v[4:5], v[16:17], -v[10:11]
	v_fma_f64 v[10:11], v[12:13], 2.0, -v[2:3]
	v_fma_f64 v[8:9], v[8:9], 2.0, -v[0:1]
	;; [unrolled: 1-line block ×4, first 2 shown]
	buffer_load_dword v16, off, s[64:67], 0 offset:88 ; 4-byte Folded Reload
	buffer_load_dword v17, off, s[64:67], 0 offset:96 ; 4-byte Folded Reload
	s_waitcnt vmcnt(1)
	v_mul_u32_u24_e32 v16, 0x44, v16
	s_waitcnt vmcnt(0)
	v_add_u32_e32 v16, v16, v17
	buffer_load_dword v17, off, s[64:67], 0 offset:68 ; 4-byte Folded Reload
	s_waitcnt vmcnt(0)
	v_lshl_add_u32 v16, v16, 4, v17
	ds_write_b128 v16, v[8:11] offset:272
	ds_write_b128 v16, v[4:7] offset:544
	ds_write_b128 v16, v[12:15]
	ds_write_b128 v16, v[0:3] offset:816
.LBB0_21:
	s_or_b64 exec, exec, s[2:3]
	s_waitcnt lgkmcnt(0)
	s_barrier
	ds_read_b128 v[0:3], v255 offset:1088
	ds_read_b128 v[8:11], v255 offset:3264
	ds_read_b128 v[4:7], v255 offset:2176
	s_mov_b32 s10, 0xf8bb580b
	s_mov_b32 s11, 0xbfe14ced
	s_waitcnt lgkmcnt(2)
	v_mul_f64 v[12:13], v[94:95], v[2:3]
	v_mul_f64 v[14:15], v[94:95], v[0:1]
	s_waitcnt lgkmcnt(1)
	v_mul_f64 v[20:21], v[70:71], v[10:11]
	v_mul_f64 v[22:23], v[70:71], v[8:9]
	s_mov_b32 s8, 0x8764f0ba
	s_mov_b32 s0, 0x8eee2c13
	;; [unrolled: 1-line block ×4, first 2 shown]
	v_fma_f64 v[28:29], v[92:93], v[0:1], v[12:13]
	v_fma_f64 v[30:31], v[92:93], v[2:3], -v[14:15]
	ds_read_b128 v[12:15], v255
	s_waitcnt lgkmcnt(1)
	v_mul_f64 v[16:17], v[86:87], v[6:7]
	v_mul_f64 v[18:19], v[86:87], v[4:5]
	ds_read_b128 v[0:3], v255 offset:4352
	v_fma_f64 v[36:37], v[68:69], v[8:9], v[20:21]
	v_fma_f64 v[38:39], v[68:69], v[10:11], -v[22:23]
	s_mov_b32 s22, 0x640f44db
	s_mov_b32 s26, 0xbb3a28a1
	;; [unrolled: 1-line block ×3, first 2 shown]
	v_fma_f64 v[32:33], v[84:85], v[4:5], v[16:17]
	v_fma_f64 v[34:35], v[84:85], v[6:7], -v[18:19]
	ds_read_b128 v[4:7], v255 offset:5440
	s_waitcnt lgkmcnt(2)
	v_add_f64 v[16:17], v[12:13], v[28:29]
	v_add_f64 v[18:19], v[14:15], v[30:31]
	s_waitcnt lgkmcnt(1)
	v_mul_f64 v[24:25], v[62:63], v[2:3]
	v_mul_f64 v[26:27], v[62:63], v[0:1]
	s_waitcnt lgkmcnt(0)
	v_mul_f64 v[40:41], v[90:91], v[6:7]
	v_mul_f64 v[42:43], v[90:91], v[4:5]
	s_mov_b32 s34, 0xfd768dbf
	s_mov_b32 s36, 0x9bcd5057
	v_add_f64 v[20:21], v[16:17], v[32:33]
	v_add_f64 v[22:23], v[18:19], v[34:35]
	ds_read_b128 v[8:11], v255 offset:6528
	ds_read_b128 v[16:19], v255 offset:7616
	v_fma_f64 v[44:45], v[60:61], v[0:1], v[24:25]
	v_fma_f64 v[46:47], v[60:61], v[2:3], -v[26:27]
	v_fma_f64 v[4:5], v[88:89], v[4:5], v[40:41]
	s_waitcnt lgkmcnt(1)
	v_mul_f64 v[52:53], v[74:75], v[10:11]
	v_mul_f64 v[54:55], v[74:75], v[8:9]
	v_add_f64 v[48:49], v[20:21], v[36:37]
	v_add_f64 v[50:51], v[22:23], v[38:39]
	ds_read_b128 v[0:3], v255 offset:8704
	ds_read_b128 v[20:23], v255 offset:9792
	ds_read_b128 v[24:27], v255 offset:10880
	buffer_load_dword v56, off, s[64:67], 0 offset:200 ; 4-byte Folded Reload
	buffer_load_dword v57, off, s[64:67], 0 offset:204 ; 4-byte Folded Reload
	;; [unrolled: 1-line block ×4, first 2 shown]
	v_fma_f64 v[6:7], v[88:89], v[6:7], -v[42:43]
	s_mov_b32 s9, 0x3feaeb8c
	v_fma_f64 v[8:9], v[72:73], v[8:9], v[52:53]
	v_fma_f64 v[10:11], v[72:73], v[10:11], -v[54:55]
	v_add_f64 v[40:41], v[48:49], v[44:45]
	v_add_f64 v[42:43], v[50:51], v[46:47]
	s_waitcnt lgkmcnt(3)
	v_mul_f64 v[48:49], v[66:67], v[18:19]
	v_mul_f64 v[50:51], v[66:67], v[16:17]
	s_waitcnt lgkmcnt(0)
	v_mul_f64 v[52:53], v[82:83], v[24:25]
	s_mov_b32 s1, 0xbfed1bb4
	s_mov_b32 s3, 0x3fda9628
	;; [unrolled: 1-line block ×3, first 2 shown]
	v_add_f64 v[40:41], v[40:41], v[4:5]
	v_add_f64 v[42:43], v[42:43], v[6:7]
	v_fma_f64 v[16:17], v[64:65], v[16:17], v[48:49]
	v_fma_f64 v[18:19], v[64:65], v[18:19], -v[50:51]
	v_mul_f64 v[48:49], v[82:83], v[26:27]
	v_fma_f64 v[26:27], v[80:81], v[26:27], -v[52:53]
	v_mul_f64 v[50:51], v[78:79], v[22:23]
	v_mul_f64 v[52:53], v[78:79], v[20:21]
	v_add_f64 v[40:41], v[40:41], v[8:9]
	v_add_f64 v[42:43], v[42:43], v[10:11]
	s_mov_b32 s23, 0xbfc2375f
	s_mov_b32 s27, 0xbfe82f19
	v_fma_f64 v[24:25], v[80:81], v[24:25], v[48:49]
	s_mov_b32 s29, 0xbfe4f49e
	v_fma_f64 v[20:21], v[76:77], v[20:21], v[50:51]
	v_fma_f64 v[22:23], v[76:77], v[22:23], -v[52:53]
	s_mov_b32 s35, 0xbfd207e7
	s_mov_b32 s37, 0xbfeeb42a
	;; [unrolled: 1-line block ×7, first 2 shown]
	v_add_f64 v[80:81], v[34:35], -v[22:23]
	s_mov_b32 s24, s18
	s_mov_b32 s31, 0x3fe82f19
	;; [unrolled: 1-line block ×5, first 2 shown]
	v_add_f64 v[84:85], v[32:33], v[20:21]
	s_waitcnt vmcnt(0)
	v_mul_f64 v[54:55], v[58:59], v[2:3]
	v_mul_f64 v[58:59], v[58:59], v[0:1]
	v_fma_f64 v[54:55], v[56:57], v[0:1], v[54:55]
	v_fma_f64 v[56:57], v[56:57], v[2:3], -v[58:59]
	v_add_f64 v[0:1], v[40:41], v[16:17]
	v_add_f64 v[2:3], v[42:43], v[18:19]
	v_add_f64 v[40:41], v[30:31], -v[26:27]
	v_add_f64 v[30:31], v[30:31], v[26:27]
	v_add_f64 v[42:43], v[28:29], v[24:25]
	v_add_f64 v[28:29], v[28:29], -v[24:25]
	v_add_f64 v[0:1], v[0:1], v[54:55]
	v_add_f64 v[2:3], v[2:3], v[56:57]
	v_mul_f64 v[48:49], v[40:41], s[10:11]
	v_mul_f64 v[50:51], v[30:31], s[8:9]
	;; [unrolled: 1-line block ×6, first 2 shown]
	v_add_f64 v[0:1], v[0:1], v[20:21]
	v_add_f64 v[2:3], v[2:3], v[22:23]
	v_fma_f64 v[52:53], v[42:43], s[8:9], v[48:49]
	v_mul_f64 v[70:71], v[40:41], s[26:27]
	v_mul_f64 v[72:73], v[30:31], s[28:29]
	;; [unrolled: 1-line block ×4, first 2 shown]
	v_add_f64 v[22:23], v[34:35], v[22:23]
	v_fma_f64 v[62:63], v[28:29], s[20:21], v[50:51]
	v_add_f64 v[0:1], v[0:1], v[24:25]
	v_add_f64 v[2:3], v[2:3], v[26:27]
	v_fma_f64 v[24:25], v[42:43], s[8:9], -v[48:49]
	v_add_f64 v[26:27], v[12:13], v[52:53]
	v_fma_f64 v[48:49], v[28:29], s[10:11], v[50:51]
	v_fma_f64 v[52:53], v[28:29], s[16:17], v[60:61]
	;; [unrolled: 1-line block ×9, first 2 shown]
	v_add_f64 v[20:21], v[32:33], -v[20:21]
	v_mul_f64 v[32:33], v[80:81], s[0:1]
	v_mul_f64 v[86:87], v[22:23], s[2:3]
	v_fma_f64 v[28:29], v[28:29], s[34:35], v[30:31]
	v_fma_f64 v[50:51], v[42:43], s[2:3], v[58:59]
	v_add_f64 v[62:63], v[14:15], v[62:63]
	v_add_f64 v[24:25], v[12:13], v[24:25]
	;; [unrolled: 1-line block ×4, first 2 shown]
	v_fma_f64 v[58:59], v[42:43], s[2:3], -v[58:59]
	v_fma_f64 v[66:67], v[42:43], s[22:23], v[64:65]
	v_fma_f64 v[64:65], v[42:43], s[22:23], -v[64:65]
	v_fma_f64 v[76:77], v[42:43], s[28:29], v[70:71]
	v_add_f64 v[60:61], v[14:15], v[60:61]
	v_add_f64 v[74:75], v[14:15], v[74:75]
	;; [unrolled: 1-line block ×4, first 2 shown]
	v_fma_f64 v[70:71], v[42:43], s[28:29], -v[70:71]
	v_add_f64 v[72:73], v[14:15], v[72:73]
	v_fma_f64 v[40:41], v[42:43], s[36:37], -v[40:41]
	v_add_f64 v[30:31], v[12:13], v[34:35]
	v_add_f64 v[34:35], v[14:15], v[82:83]
	v_mul_f64 v[42:43], v[80:81], s[26:27]
	v_mul_f64 v[82:83], v[22:23], s[28:29]
	v_fma_f64 v[88:89], v[84:85], s[2:3], v[32:33]
	v_fma_f64 v[90:91], v[20:21], s[16:17], v[86:87]
	v_add_f64 v[14:15], v[14:15], v[28:29]
	v_fma_f64 v[28:29], v[84:85], s[2:3], -v[32:33]
	v_fma_f64 v[32:33], v[20:21], s[0:1], v[86:87]
	v_add_f64 v[50:51], v[12:13], v[50:51]
	v_add_f64 v[58:59], v[12:13], v[58:59]
	;; [unrolled: 1-line block ×7, first 2 shown]
	v_fma_f64 v[40:41], v[84:85], s[28:29], v[42:43]
	v_fma_f64 v[86:87], v[20:21], s[30:31], v[82:83]
	v_add_f64 v[26:27], v[88:89], v[26:27]
	v_add_f64 v[62:63], v[90:91], v[62:63]
	v_mul_f64 v[88:89], v[80:81], s[38:39]
	v_mul_f64 v[90:91], v[22:23], s[36:37]
	v_add_f64 v[24:25], v[28:29], v[24:25]
	v_add_f64 v[28:29], v[32:33], v[48:49]
	v_fma_f64 v[42:43], v[84:85], s[28:29], -v[42:43]
	v_fma_f64 v[48:49], v[20:21], s[26:27], v[82:83]
	v_mul_f64 v[82:83], v[80:81], s[24:25]
	v_add_f64 v[32:33], v[40:41], v[50:51]
	v_add_f64 v[40:41], v[86:87], v[52:53]
	v_fma_f64 v[50:51], v[84:85], s[36:37], v[88:89]
	v_fma_f64 v[52:53], v[20:21], s[34:35], v[90:91]
	v_mul_f64 v[86:87], v[22:23], s[22:23]
	v_fma_f64 v[90:91], v[20:21], s[38:39], v[90:91]
	v_add_f64 v[42:43], v[42:43], v[58:59]
	v_fma_f64 v[58:59], v[84:85], s[22:23], v[82:83]
	v_mul_f64 v[80:81], v[80:81], s[20:21]
	v_mul_f64 v[22:23], v[22:23], s[8:9]
	v_add_f64 v[50:51], v[50:51], v[66:67]
	v_add_f64 v[52:53], v[52:53], v[74:75]
	v_fma_f64 v[74:75], v[20:21], s[24:25], v[86:87]
	v_add_f64 v[66:67], v[90:91], v[68:69]
	v_fma_f64 v[68:69], v[84:85], s[22:23], -v[82:83]
	v_add_f64 v[58:59], v[58:59], v[76:77]
	v_add_f64 v[76:77], v[38:39], -v[56:57]
	v_add_f64 v[48:49], v[48:49], v[60:61]
	v_fma_f64 v[60:61], v[20:21], s[18:19], v[86:87]
	v_add_f64 v[38:39], v[38:39], v[56:57]
	v_fma_f64 v[88:89], v[84:85], s[36:37], -v[88:89]
	v_add_f64 v[56:57], v[68:69], v[70:71]
	v_add_f64 v[68:69], v[74:75], v[72:73]
	v_fma_f64 v[70:71], v[84:85], s[8:9], v[80:81]
	v_fma_f64 v[72:73], v[20:21], s[10:11], v[22:23]
	v_add_f64 v[74:75], v[36:37], v[54:55]
	v_add_f64 v[36:37], v[36:37], -v[54:55]
	v_mul_f64 v[54:55], v[76:77], s[18:19]
	v_add_f64 v[60:61], v[60:61], v[78:79]
	v_mul_f64 v[78:79], v[38:39], s[22:23]
	v_fma_f64 v[20:21], v[20:21], s[20:21], v[22:23]
	v_add_f64 v[22:23], v[70:71], v[30:31]
	v_add_f64 v[30:31], v[72:73], v[34:35]
	v_mul_f64 v[34:35], v[76:77], s[38:39]
	v_fma_f64 v[80:81], v[84:85], s[8:9], -v[80:81]
	v_fma_f64 v[72:73], v[74:75], s[22:23], v[54:55]
	v_mul_f64 v[70:71], v[38:39], s[36:37]
	v_fma_f64 v[82:83], v[36:37], s[24:25], v[78:79]
	v_add_f64 v[14:15], v[20:21], v[14:15]
	v_fma_f64 v[20:21], v[74:75], s[22:23], -v[54:55]
	v_fma_f64 v[54:55], v[36:37], s[18:19], v[78:79]
	v_fma_f64 v[78:79], v[74:75], s[36:37], v[34:35]
	v_add_f64 v[12:13], v[80:81], v[12:13]
	v_add_f64 v[26:27], v[72:73], v[26:27]
	v_mul_f64 v[72:73], v[76:77], s[16:17]
	v_fma_f64 v[80:81], v[36:37], s[34:35], v[70:71]
	v_add_f64 v[62:63], v[82:83], v[62:63]
	v_mul_f64 v[82:83], v[38:39], s[2:3]
	v_add_f64 v[20:21], v[20:21], v[24:25]
	v_add_f64 v[24:25], v[54:55], v[28:29]
	;; [unrolled: 1-line block ×3, first 2 shown]
	v_fma_f64 v[34:35], v[74:75], s[36:37], -v[34:35]
	v_fma_f64 v[54:55], v[74:75], s[2:3], v[72:73]
	v_mul_f64 v[78:79], v[76:77], s[10:11]
	v_add_f64 v[64:65], v[88:89], v[64:65]
	v_add_f64 v[32:33], v[80:81], v[40:41]
	v_fma_f64 v[40:41], v[36:37], s[38:39], v[70:71]
	v_fma_f64 v[70:71], v[36:37], s[0:1], v[82:83]
	v_fma_f64 v[72:73], v[74:75], s[2:3], -v[72:73]
	v_fma_f64 v[82:83], v[36:37], s[16:17], v[82:83]
	v_add_f64 v[34:35], v[34:35], v[42:43]
	v_add_f64 v[42:43], v[54:55], v[50:51]
	v_fma_f64 v[50:51], v[74:75], s[8:9], v[78:79]
	v_mul_f64 v[80:81], v[38:39], s[8:9]
	v_add_f64 v[40:41], v[40:41], v[48:49]
	v_add_f64 v[48:49], v[70:71], v[52:53]
	;; [unrolled: 1-line block ×4, first 2 shown]
	v_mul_f64 v[66:67], v[76:77], s[26:27]
	v_fma_f64 v[70:71], v[74:75], s[8:9], -v[78:79]
	v_add_f64 v[50:51], v[50:51], v[58:59]
	v_add_f64 v[58:59], v[46:47], -v[18:19]
	v_fma_f64 v[52:53], v[36:37], s[20:21], v[80:81]
	v_mul_f64 v[38:39], v[38:39], s[28:29]
	v_fma_f64 v[72:73], v[36:37], s[10:11], v[80:81]
	v_add_f64 v[18:19], v[46:47], v[18:19]
	v_fma_f64 v[46:47], v[74:75], s[28:29], v[66:67]
	v_add_f64 v[56:57], v[70:71], v[56:57]
	v_add_f64 v[70:71], v[44:45], v[16:17]
	v_add_f64 v[16:17], v[44:45], -v[16:17]
	v_mul_f64 v[44:45], v[58:59], s[26:27]
	v_add_f64 v[52:53], v[52:53], v[60:61]
	v_fma_f64 v[60:61], v[36:37], s[30:31], v[38:39]
	v_add_f64 v[68:69], v[72:73], v[68:69]
	v_mul_f64 v[72:73], v[18:19], s[28:29]
	v_add_f64 v[22:23], v[46:47], v[22:23]
	v_fma_f64 v[46:47], v[74:75], s[28:29], -v[66:67]
	v_fma_f64 v[36:37], v[36:37], s[26:27], v[38:39]
	v_fma_f64 v[66:67], v[70:71], s[28:29], v[44:45]
	v_fma_f64 v[44:45], v[70:71], s[28:29], -v[44:45]
	v_add_f64 v[30:31], v[60:61], v[30:31]
	v_mul_f64 v[38:39], v[58:59], s[24:25]
	v_mul_f64 v[60:61], v[18:19], s[22:23]
	v_fma_f64 v[74:75], v[16:17], s[30:31], v[72:73]
	v_fma_f64 v[72:73], v[16:17], s[26:27], v[72:73]
	v_add_f64 v[12:13], v[46:47], v[12:13]
	v_add_f64 v[14:15], v[36:37], v[14:15]
	;; [unrolled: 1-line block ×3, first 2 shown]
	v_mul_f64 v[44:45], v[58:59], s[10:11]
	v_fma_f64 v[36:37], v[70:71], s[22:23], v[38:39]
	v_fma_f64 v[46:47], v[16:17], s[18:19], v[60:61]
	v_add_f64 v[26:27], v[66:67], v[26:27]
	v_add_f64 v[24:25], v[72:73], v[24:25]
	v_mul_f64 v[66:67], v[18:19], s[8:9]
	v_fma_f64 v[38:39], v[70:71], s[22:23], -v[38:39]
	v_fma_f64 v[60:61], v[16:17], s[24:25], v[60:61]
	v_fma_f64 v[72:73], v[70:71], s[8:9], v[44:45]
	v_fma_f64 v[44:45], v[70:71], s[8:9], -v[44:45]
	v_add_f64 v[62:63], v[74:75], v[62:63]
	v_add_f64 v[28:29], v[36:37], v[28:29]
	;; [unrolled: 1-line block ×3, first 2 shown]
	v_mul_f64 v[36:37], v[58:59], s[34:35]
	v_mul_f64 v[46:47], v[18:19], s[36:37]
	v_fma_f64 v[74:75], v[16:17], s[20:21], v[66:67]
	v_fma_f64 v[66:67], v[16:17], s[10:11], v[66:67]
	v_add_f64 v[34:35], v[38:39], v[34:35]
	v_add_f64 v[38:39], v[60:61], v[40:41]
	;; [unrolled: 1-line block ×3, first 2 shown]
	v_add_f64 v[54:55], v[6:7], -v[10:11]
	v_add_f64 v[60:61], v[6:7], v[10:11]
	v_mul_f64 v[6:7], v[58:59], s[16:17]
	v_mul_f64 v[10:11], v[18:19], s[2:3]
	v_fma_f64 v[76:77], v[70:71], s[36:37], v[36:37]
	v_fma_f64 v[78:79], v[16:17], s[38:39], v[46:47]
	v_add_f64 v[40:41], v[72:73], v[42:43]
	v_add_f64 v[42:43], v[74:75], v[48:49]
	;; [unrolled: 1-line block ×3, first 2 shown]
	v_fma_f64 v[18:19], v[70:71], s[36:37], -v[36:37]
	v_fma_f64 v[36:37], v[16:17], s[34:35], v[46:47]
	v_add_f64 v[46:47], v[4:5], v[8:9]
	v_add_f64 v[58:59], v[4:5], -v[8:9]
	v_mul_f64 v[8:9], v[54:55], s[34:35]
	v_fma_f64 v[4:5], v[70:71], s[2:3], v[6:7]
	v_fma_f64 v[66:67], v[16:17], s[0:1], v[10:11]
	v_mul_f64 v[64:65], v[60:61], s[36:37]
	v_fma_f64 v[6:7], v[70:71], s[2:3], -v[6:7]
	v_add_f64 v[68:69], v[36:37], v[68:69]
	v_fma_f64 v[10:11], v[16:17], s[16:17], v[10:11]
	v_add_f64 v[56:57], v[18:19], v[56:57]
	v_fma_f64 v[16:17], v[46:47], s[36:37], v[8:9]
	v_add_f64 v[36:37], v[4:5], v[22:23]
	v_add_f64 v[66:67], v[66:67], v[30:31]
	v_mul_f64 v[22:23], v[54:55], s[20:21]
	v_mul_f64 v[30:31], v[60:61], s[8:9]
	v_fma_f64 v[18:19], v[58:59], s[38:39], v[64:65]
	v_add_f64 v[70:71], v[6:7], v[12:13]
	v_add_f64 v[72:73], v[10:11], v[14:15]
	;; [unrolled: 1-line block ×3, first 2 shown]
	v_fma_f64 v[8:9], v[46:47], s[36:37], -v[8:9]
	v_fma_f64 v[10:11], v[58:59], s[34:35], v[64:65]
	v_fma_f64 v[12:13], v[46:47], s[8:9], v[22:23]
	;; [unrolled: 1-line block ×3, first 2 shown]
	v_mul_f64 v[26:27], v[54:55], s[26:27]
	v_fma_f64 v[16:17], v[46:47], s[8:9], -v[22:23]
	v_mul_f64 v[22:23], v[60:61], s[28:29]
	v_add_f64 v[6:7], v[18:19], v[62:63]
	v_fma_f64 v[18:19], v[58:59], s[20:21], v[30:31]
	v_add_f64 v[8:9], v[8:9], v[20:21]
	v_add_f64 v[10:11], v[10:11], v[24:25]
	;; [unrolled: 1-line block ×4, first 2 shown]
	v_fma_f64 v[20:21], v[46:47], s[28:29], v[26:27]
	v_fma_f64 v[24:25], v[58:59], s[30:31], v[22:23]
	v_fma_f64 v[26:27], v[46:47], s[28:29], -v[26:27]
	v_fma_f64 v[28:29], v[58:59], s[26:27], v[22:23]
	v_mul_f64 v[30:31], v[54:55], s[16:17]
	v_mul_f64 v[32:33], v[60:61], s[2:3]
	v_add_f64 v[16:17], v[16:17], v[34:35]
	v_add_f64 v[18:19], v[18:19], v[38:39]
	v_mul_f64 v[34:35], v[54:55], s[18:19]
	v_mul_f64 v[38:39], v[60:61], s[22:23]
	v_add_f64 v[50:51], v[76:77], v[50:51]
	v_add_f64 v[52:53], v[78:79], v[52:53]
	;; [unrolled: 1-line block ×6, first 2 shown]
	v_fma_f64 v[28:29], v[46:47], s[2:3], v[30:31]
	v_fma_f64 v[40:41], v[58:59], s[0:1], v[32:33]
	;; [unrolled: 1-line block ×4, first 2 shown]
	v_fma_f64 v[42:43], v[46:47], s[2:3], -v[30:31]
	v_fma_f64 v[34:35], v[46:47], s[22:23], -v[34:35]
	v_fma_f64 v[46:47], v[58:59], s[18:19], v[38:39]
	v_fma_f64 v[54:55], v[58:59], s[16:17], v[32:33]
	v_add_f64 v[28:29], v[28:29], v[50:51]
	v_add_f64 v[30:31], v[40:41], v[52:53]
	;; [unrolled: 1-line block ×8, first 2 shown]
	ds_write_b128 v180, v[0:3]
	ds_write_b128 v180, v[4:7] offset:1088
	ds_write_b128 v180, v[12:15] offset:2176
	;; [unrolled: 1-line block ×10, first 2 shown]
	s_waitcnt lgkmcnt(0)
	s_barrier
	buffer_load_dword v18, off, s[64:67], 0 offset:76 ; 4-byte Folded Reload
	buffer_load_dword v19, off, s[64:67], 0 offset:80 ; 4-byte Folded Reload
	s_and_b64 s[0:1], exec, vcc
	s_mov_b64 exec, s[0:1]
	s_cbranch_execz .LBB0_23
; %bb.22:
	buffer_load_dword v21, off, s[64:67], 0 offset:72 ; 4-byte Folded Reload
	ds_read_b128 v[4:7], v180
	ds_read_b128 v[8:11], v180 offset:704
	s_waitcnt vmcnt(2)
	v_mad_u64_u32 v[12:13], s[0:1], s6, v18, 0
	v_mad_u64_u32 v[14:15], s[0:1], s4, v178, 0
	s_mul_i32 s3, s5, 0x2c0
	s_mul_hi_u32 s6, s4, 0x2c0
	s_waitcnt vmcnt(1)
	v_mad_u64_u32 v[18:19], s[0:1], s7, v18, v[13:14]
	s_mul_i32 s2, s4, 0x2c0
	s_add_i32 s3, s6, s3
	v_mov_b32_e32 v13, v18
	s_movk_i32 s6, 0x1000
	s_waitcnt vmcnt(0)
	global_load_dwordx4 v[0:3], v21, s[12:13]
	s_waitcnt vmcnt(0) lgkmcnt(1)
	v_mul_f64 v[16:17], v[6:7], v[2:3]
	v_mul_f64 v[2:3], v[4:5], v[2:3]
	v_fma_f64 v[4:5], v[4:5], v[0:1], v[16:17]
	v_fma_f64 v[0:1], v[0:1], v[6:7], -v[2:3]
	v_mad_u64_u32 v[19:20], s[0:1], s5, v178, v[15:16]
	s_mov_b32 s0, 0xb8d015e7
	s_mov_b32 s1, 0x3f55e75b
	v_lshlrev_b64 v[6:7], 4, v[12:13]
	v_mov_b32_e32 v15, v19
	v_mul_f64 v[2:3], v[4:5], s[0:1]
	v_mul_f64 v[4:5], v[0:1], s[0:1]
	v_mov_b32_e32 v16, s15
	v_lshlrev_b64 v[12:13], 4, v[14:15]
	v_add_co_u32_e32 v0, vcc, s14, v6
	v_addc_co_u32_e32 v1, vcc, v16, v7, vcc
	v_add_co_u32_e32 v6, vcc, v0, v12
	v_addc_co_u32_e32 v7, vcc, v1, v13, vcc
	global_store_dwordx4 v[6:7], v[2:5], off
	global_load_dwordx4 v[2:5], v21, s[12:13] offset:704
	v_add_co_u32_e32 v14, vcc, s2, v6
	s_waitcnt vmcnt(0) lgkmcnt(0)
	v_mul_f64 v[12:13], v[10:11], v[4:5]
	v_mul_f64 v[4:5], v[8:9], v[4:5]
	v_fma_f64 v[8:9], v[8:9], v[2:3], v[12:13]
	v_fma_f64 v[4:5], v[2:3], v[10:11], -v[4:5]
	v_mul_f64 v[2:3], v[8:9], s[0:1]
	v_mul_f64 v[4:5], v[4:5], s[0:1]
	v_mov_b32_e32 v8, s3
	v_addc_co_u32_e32 v15, vcc, v7, v8, vcc
	global_store_dwordx4 v[14:15], v[2:5], off
	global_load_dwordx4 v[2:5], v21, s[12:13] offset:1408
	ds_read_b128 v[6:9], v180 offset:1408
	ds_read_b128 v[10:13], v180 offset:2112
	s_waitcnt vmcnt(0) lgkmcnt(1)
	v_mul_f64 v[16:17], v[8:9], v[4:5]
	v_mul_f64 v[4:5], v[6:7], v[4:5]
	v_fma_f64 v[6:7], v[6:7], v[2:3], v[16:17]
	v_fma_f64 v[4:5], v[2:3], v[8:9], -v[4:5]
	v_mul_f64 v[2:3], v[6:7], s[0:1]
	v_mul_f64 v[4:5], v[4:5], s[0:1]
	v_mov_b32_e32 v7, s3
	v_add_co_u32_e32 v6, vcc, s2, v14
	v_addc_co_u32_e32 v7, vcc, v15, v7, vcc
	v_add_co_u32_e32 v14, vcc, s2, v6
	global_store_dwordx4 v[6:7], v[2:5], off
	global_load_dwordx4 v[2:5], v21, s[12:13] offset:2112
	s_waitcnt vmcnt(0) lgkmcnt(0)
	v_mul_f64 v[8:9], v[12:13], v[4:5]
	v_mul_f64 v[4:5], v[10:11], v[4:5]
	v_fma_f64 v[8:9], v[10:11], v[2:3], v[8:9]
	v_fma_f64 v[4:5], v[2:3], v[12:13], -v[4:5]
	v_mul_f64 v[2:3], v[8:9], s[0:1]
	v_mul_f64 v[4:5], v[4:5], s[0:1]
	v_mov_b32_e32 v8, s3
	v_addc_co_u32_e32 v15, vcc, v7, v8, vcc
	global_store_dwordx4 v[14:15], v[2:5], off
	global_load_dwordx4 v[2:5], v21, s[12:13] offset:2816
	ds_read_b128 v[6:9], v180 offset:2816
	ds_read_b128 v[10:13], v180 offset:3520
	s_waitcnt vmcnt(0) lgkmcnt(1)
	v_mul_f64 v[16:17], v[8:9], v[4:5]
	v_mul_f64 v[4:5], v[6:7], v[4:5]
	v_fma_f64 v[6:7], v[6:7], v[2:3], v[16:17]
	v_fma_f64 v[4:5], v[2:3], v[8:9], -v[4:5]
	v_mul_f64 v[2:3], v[6:7], s[0:1]
	v_mul_f64 v[4:5], v[4:5], s[0:1]
	v_mov_b32_e32 v7, s3
	v_add_co_u32_e32 v6, vcc, s2, v14
	v_addc_co_u32_e32 v7, vcc, v15, v7, vcc
	v_mov_b32_e32 v14, s13
	v_add_co_u32_e32 v20, vcc, s12, v21
	global_store_dwordx4 v[6:7], v[2:5], off
	global_load_dwordx4 v[2:5], v21, s[12:13] offset:3520
	v_addc_co_u32_e32 v21, vcc, 0, v14, vcc
	v_add_co_u32_e32 v14, vcc, s6, v20
	v_addc_co_u32_e32 v15, vcc, 0, v21, vcc
	v_add_co_u32_e32 v16, vcc, s2, v6
	s_movk_i32 s6, 0x2000
	s_waitcnt vmcnt(0) lgkmcnt(0)
	v_mul_f64 v[8:9], v[12:13], v[4:5]
	v_mul_f64 v[4:5], v[10:11], v[4:5]
	v_fma_f64 v[8:9], v[10:11], v[2:3], v[8:9]
	v_fma_f64 v[4:5], v[2:3], v[12:13], -v[4:5]
	v_mov_b32_e32 v10, s3
	v_addc_co_u32_e32 v17, vcc, v7, v10, vcc
	v_mul_f64 v[2:3], v[8:9], s[0:1]
	v_mul_f64 v[4:5], v[4:5], s[0:1]
	global_store_dwordx4 v[16:17], v[2:5], off
	global_load_dwordx4 v[2:5], v[14:15], off offset:128
	ds_read_b128 v[6:9], v180 offset:4224
	ds_read_b128 v[10:13], v180 offset:4928
	s_waitcnt vmcnt(0) lgkmcnt(1)
	v_mul_f64 v[18:19], v[8:9], v[4:5]
	v_mul_f64 v[4:5], v[6:7], v[4:5]
	v_fma_f64 v[6:7], v[6:7], v[2:3], v[18:19]
	v_fma_f64 v[4:5], v[2:3], v[8:9], -v[4:5]
	v_mul_f64 v[2:3], v[6:7], s[0:1]
	v_mul_f64 v[4:5], v[4:5], s[0:1]
	v_mov_b32_e32 v7, s3
	v_add_co_u32_e32 v6, vcc, s2, v16
	v_addc_co_u32_e32 v7, vcc, v17, v7, vcc
	v_add_co_u32_e32 v16, vcc, s2, v6
	global_store_dwordx4 v[6:7], v[2:5], off
	global_load_dwordx4 v[2:5], v[14:15], off offset:832
	s_waitcnt vmcnt(0) lgkmcnt(0)
	v_mul_f64 v[8:9], v[12:13], v[4:5]
	v_mul_f64 v[4:5], v[10:11], v[4:5]
	v_fma_f64 v[8:9], v[10:11], v[2:3], v[8:9]
	v_fma_f64 v[4:5], v[2:3], v[12:13], -v[4:5]
	v_mul_f64 v[2:3], v[8:9], s[0:1]
	v_mul_f64 v[4:5], v[4:5], s[0:1]
	v_mov_b32_e32 v8, s3
	v_addc_co_u32_e32 v17, vcc, v7, v8, vcc
	global_store_dwordx4 v[16:17], v[2:5], off
	global_load_dwordx4 v[2:5], v[14:15], off offset:1536
	ds_read_b128 v[6:9], v180 offset:5632
	ds_read_b128 v[10:13], v180 offset:6336
	s_waitcnt vmcnt(0) lgkmcnt(1)
	v_mul_f64 v[18:19], v[8:9], v[4:5]
	v_mul_f64 v[4:5], v[6:7], v[4:5]
	v_fma_f64 v[6:7], v[6:7], v[2:3], v[18:19]
	v_fma_f64 v[4:5], v[2:3], v[8:9], -v[4:5]
	v_mul_f64 v[2:3], v[6:7], s[0:1]
	v_mul_f64 v[4:5], v[4:5], s[0:1]
	v_mov_b32_e32 v7, s3
	v_add_co_u32_e32 v6, vcc, s2, v16
	v_addc_co_u32_e32 v7, vcc, v17, v7, vcc
	v_add_co_u32_e32 v16, vcc, s2, v6
	global_store_dwordx4 v[6:7], v[2:5], off
	global_load_dwordx4 v[2:5], v[14:15], off offset:2240
	s_waitcnt vmcnt(0) lgkmcnt(0)
	v_mul_f64 v[8:9], v[12:13], v[4:5]
	v_mul_f64 v[4:5], v[10:11], v[4:5]
	v_fma_f64 v[8:9], v[10:11], v[2:3], v[8:9]
	v_fma_f64 v[4:5], v[2:3], v[12:13], -v[4:5]
	v_mul_f64 v[2:3], v[8:9], s[0:1]
	v_mul_f64 v[4:5], v[4:5], s[0:1]
	v_mov_b32_e32 v8, s3
	v_addc_co_u32_e32 v17, vcc, v7, v8, vcc
	global_store_dwordx4 v[16:17], v[2:5], off
	global_load_dwordx4 v[2:5], v[14:15], off offset:2944
	ds_read_b128 v[6:9], v180 offset:7040
	ds_read_b128 v[10:13], v180 offset:7744
	s_waitcnt vmcnt(0) lgkmcnt(1)
	v_mul_f64 v[18:19], v[8:9], v[4:5]
	v_mul_f64 v[4:5], v[6:7], v[4:5]
	v_fma_f64 v[6:7], v[6:7], v[2:3], v[18:19]
	v_fma_f64 v[4:5], v[2:3], v[8:9], -v[4:5]
	v_mul_f64 v[2:3], v[6:7], s[0:1]
	v_mul_f64 v[4:5], v[4:5], s[0:1]
	v_mov_b32_e32 v7, s3
	v_add_co_u32_e32 v6, vcc, s2, v16
	v_addc_co_u32_e32 v7, vcc, v17, v7, vcc
	global_store_dwordx4 v[6:7], v[2:5], off
	global_load_dwordx4 v[2:5], v[14:15], off offset:3648
	v_add_co_u32_e32 v14, vcc, s6, v20
	v_addc_co_u32_e32 v15, vcc, 0, v21, vcc
	v_add_co_u32_e32 v16, vcc, s2, v6
	s_waitcnt vmcnt(0) lgkmcnt(0)
	v_mul_f64 v[8:9], v[12:13], v[4:5]
	v_mul_f64 v[4:5], v[10:11], v[4:5]
	v_fma_f64 v[8:9], v[10:11], v[2:3], v[8:9]
	v_fma_f64 v[4:5], v[2:3], v[12:13], -v[4:5]
	v_mov_b32_e32 v10, s3
	v_addc_co_u32_e32 v17, vcc, v7, v10, vcc
	v_mul_f64 v[2:3], v[8:9], s[0:1]
	v_mul_f64 v[4:5], v[4:5], s[0:1]
	global_store_dwordx4 v[16:17], v[2:5], off
	global_load_dwordx4 v[2:5], v[14:15], off offset:256
	ds_read_b128 v[6:9], v180 offset:8448
	ds_read_b128 v[10:13], v180 offset:9152
	s_waitcnt vmcnt(0) lgkmcnt(1)
	v_mul_f64 v[18:19], v[8:9], v[4:5]
	v_mul_f64 v[4:5], v[6:7], v[4:5]
	v_fma_f64 v[6:7], v[6:7], v[2:3], v[18:19]
	v_fma_f64 v[4:5], v[2:3], v[8:9], -v[4:5]
	v_mul_f64 v[2:3], v[6:7], s[0:1]
	v_mul_f64 v[4:5], v[4:5], s[0:1]
	v_mov_b32_e32 v7, s3
	v_add_co_u32_e32 v6, vcc, s2, v16
	v_addc_co_u32_e32 v7, vcc, v17, v7, vcc
	v_add_co_u32_e32 v16, vcc, s2, v6
	global_store_dwordx4 v[6:7], v[2:5], off
	global_load_dwordx4 v[2:5], v[14:15], off offset:960
	s_waitcnt vmcnt(0) lgkmcnt(0)
	v_mul_f64 v[8:9], v[12:13], v[4:5]
	v_mul_f64 v[4:5], v[10:11], v[4:5]
	v_fma_f64 v[8:9], v[10:11], v[2:3], v[8:9]
	v_fma_f64 v[4:5], v[2:3], v[12:13], -v[4:5]
	v_mul_f64 v[2:3], v[8:9], s[0:1]
	v_mul_f64 v[4:5], v[4:5], s[0:1]
	v_mov_b32_e32 v8, s3
	v_addc_co_u32_e32 v17, vcc, v7, v8, vcc
	global_store_dwordx4 v[16:17], v[2:5], off
	global_load_dwordx4 v[2:5], v[14:15], off offset:1664
	ds_read_b128 v[6:9], v180 offset:9856
	ds_read_b128 v[10:13], v180 offset:10560
	s_waitcnt vmcnt(0) lgkmcnt(1)
	v_mul_f64 v[18:19], v[8:9], v[4:5]
	v_mul_f64 v[4:5], v[6:7], v[4:5]
	v_fma_f64 v[6:7], v[6:7], v[2:3], v[18:19]
	v_fma_f64 v[4:5], v[2:3], v[8:9], -v[4:5]
	v_mul_f64 v[2:3], v[6:7], s[0:1]
	v_mul_f64 v[4:5], v[4:5], s[0:1]
	v_mov_b32_e32 v7, s3
	v_add_co_u32_e32 v6, vcc, s2, v16
	v_addc_co_u32_e32 v7, vcc, v17, v7, vcc
	global_store_dwordx4 v[6:7], v[2:5], off
	global_load_dwordx4 v[2:5], v[14:15], off offset:2368
	v_add_co_u32_e32 v6, vcc, s2, v6
	s_waitcnt vmcnt(0) lgkmcnt(0)
	v_mul_f64 v[8:9], v[12:13], v[4:5]
	v_mul_f64 v[4:5], v[10:11], v[4:5]
	v_fma_f64 v[8:9], v[10:11], v[2:3], v[8:9]
	v_fma_f64 v[4:5], v[2:3], v[12:13], -v[4:5]
	v_or_b32_e32 v12, 0x2c0, v178
	v_mul_f64 v[2:3], v[8:9], s[0:1]
	v_mul_f64 v[4:5], v[4:5], s[0:1]
	v_mov_b32_e32 v9, s3
	v_addc_co_u32_e32 v7, vcc, v7, v9, vcc
	v_lshlrev_b32_e32 v8, 4, v12
	global_store_dwordx4 v[6:7], v[2:5], off
	global_load_dwordx4 v[2:5], v8, s[12:13]
	ds_read_b128 v[6:9], v180 offset:11264
	s_waitcnt vmcnt(0) lgkmcnt(0)
	v_mul_f64 v[10:11], v[8:9], v[4:5]
	v_mul_f64 v[4:5], v[6:7], v[4:5]
	v_fma_f64 v[6:7], v[6:7], v[2:3], v[10:11]
	v_fma_f64 v[4:5], v[2:3], v[8:9], -v[4:5]
	v_mad_u64_u32 v[8:9], s[2:3], s4, v12, 0
	v_mov_b32_e32 v2, v9
	v_mad_u64_u32 v[9:10], s[2:3], s5, v12, v[2:3]
	v_mul_f64 v[2:3], v[6:7], s[0:1]
	v_mul_f64 v[4:5], v[4:5], s[0:1]
	v_lshlrev_b64 v[6:7], 4, v[8:9]
	v_add_co_u32_e32 v0, vcc, v0, v6
	v_addc_co_u32_e32 v1, vcc, v1, v7, vcc
	global_store_dwordx4 v[0:1], v[2:5], off
.LBB0_23:
	s_endpgm
	.section	.rodata,"a",@progbits
	.p2align	6, 0x0
	.amdhsa_kernel bluestein_single_back_len748_dim1_dp_op_CI_CI
		.amdhsa_group_segment_fixed_size 35904
		.amdhsa_private_segment_fixed_size 628
		.amdhsa_kernarg_size 104
		.amdhsa_user_sgpr_count 6
		.amdhsa_user_sgpr_private_segment_buffer 1
		.amdhsa_user_sgpr_dispatch_ptr 0
		.amdhsa_user_sgpr_queue_ptr 0
		.amdhsa_user_sgpr_kernarg_segment_ptr 1
		.amdhsa_user_sgpr_dispatch_id 0
		.amdhsa_user_sgpr_flat_scratch_init 0
		.amdhsa_user_sgpr_private_segment_size 0
		.amdhsa_uses_dynamic_stack 0
		.amdhsa_system_sgpr_private_segment_wavefront_offset 1
		.amdhsa_system_sgpr_workgroup_id_x 1
		.amdhsa_system_sgpr_workgroup_id_y 0
		.amdhsa_system_sgpr_workgroup_id_z 0
		.amdhsa_system_sgpr_workgroup_info 0
		.amdhsa_system_vgpr_workitem_id 0
		.amdhsa_next_free_vgpr 256
		.amdhsa_next_free_sgpr 68
		.amdhsa_reserve_vcc 1
		.amdhsa_reserve_flat_scratch 0
		.amdhsa_float_round_mode_32 0
		.amdhsa_float_round_mode_16_64 0
		.amdhsa_float_denorm_mode_32 3
		.amdhsa_float_denorm_mode_16_64 3
		.amdhsa_dx10_clamp 1
		.amdhsa_ieee_mode 1
		.amdhsa_fp16_overflow 0
		.amdhsa_exception_fp_ieee_invalid_op 0
		.amdhsa_exception_fp_denorm_src 0
		.amdhsa_exception_fp_ieee_div_zero 0
		.amdhsa_exception_fp_ieee_overflow 0
		.amdhsa_exception_fp_ieee_underflow 0
		.amdhsa_exception_fp_ieee_inexact 0
		.amdhsa_exception_int_div_zero 0
	.end_amdhsa_kernel
	.text
.Lfunc_end0:
	.size	bluestein_single_back_len748_dim1_dp_op_CI_CI, .Lfunc_end0-bluestein_single_back_len748_dim1_dp_op_CI_CI
                                        ; -- End function
	.section	.AMDGPU.csdata,"",@progbits
; Kernel info:
; codeLenInByte = 31632
; NumSgprs: 72
; NumVgprs: 256
; ScratchSize: 628
; MemoryBound: 0
; FloatMode: 240
; IeeeMode: 1
; LDSByteSize: 35904 bytes/workgroup (compile time only)
; SGPRBlocks: 8
; VGPRBlocks: 63
; NumSGPRsForWavesPerEU: 72
; NumVGPRsForWavesPerEU: 256
; Occupancy: 1
; WaveLimiterHint : 1
; COMPUTE_PGM_RSRC2:SCRATCH_EN: 1
; COMPUTE_PGM_RSRC2:USER_SGPR: 6
; COMPUTE_PGM_RSRC2:TRAP_HANDLER: 0
; COMPUTE_PGM_RSRC2:TGID_X_EN: 1
; COMPUTE_PGM_RSRC2:TGID_Y_EN: 0
; COMPUTE_PGM_RSRC2:TGID_Z_EN: 0
; COMPUTE_PGM_RSRC2:TIDIG_COMP_CNT: 0
	.type	__hip_cuid_9fd2547efaecc129,@object ; @__hip_cuid_9fd2547efaecc129
	.section	.bss,"aw",@nobits
	.globl	__hip_cuid_9fd2547efaecc129
__hip_cuid_9fd2547efaecc129:
	.byte	0                               ; 0x0
	.size	__hip_cuid_9fd2547efaecc129, 1

	.ident	"AMD clang version 19.0.0git (https://github.com/RadeonOpenCompute/llvm-project roc-6.4.0 25133 c7fe45cf4b819c5991fe208aaa96edf142730f1d)"
	.section	".note.GNU-stack","",@progbits
	.addrsig
	.addrsig_sym __hip_cuid_9fd2547efaecc129
	.amdgpu_metadata
---
amdhsa.kernels:
  - .args:
      - .actual_access:  read_only
        .address_space:  global
        .offset:         0
        .size:           8
        .value_kind:     global_buffer
      - .actual_access:  read_only
        .address_space:  global
        .offset:         8
        .size:           8
        .value_kind:     global_buffer
      - .actual_access:  read_only
        .address_space:  global
        .offset:         16
        .size:           8
        .value_kind:     global_buffer
      - .actual_access:  read_only
        .address_space:  global
        .offset:         24
        .size:           8
        .value_kind:     global_buffer
      - .actual_access:  read_only
        .address_space:  global
        .offset:         32
        .size:           8
        .value_kind:     global_buffer
      - .offset:         40
        .size:           8
        .value_kind:     by_value
      - .address_space:  global
        .offset:         48
        .size:           8
        .value_kind:     global_buffer
      - .address_space:  global
        .offset:         56
        .size:           8
        .value_kind:     global_buffer
      - .address_space:  global
        .offset:         64
        .size:           8
        .value_kind:     global_buffer
      - .address_space:  global
        .offset:         72
        .size:           8
        .value_kind:     global_buffer
      - .offset:         80
        .size:           4
        .value_kind:     by_value
      - .address_space:  global
        .offset:         88
        .size:           8
        .value_kind:     global_buffer
      - .address_space:  global
        .offset:         96
        .size:           8
        .value_kind:     global_buffer
    .group_segment_fixed_size: 35904
    .kernarg_segment_align: 8
    .kernarg_segment_size: 104
    .language:       OpenCL C
    .language_version:
      - 2
      - 0
    .max_flat_workgroup_size: 204
    .name:           bluestein_single_back_len748_dim1_dp_op_CI_CI
    .private_segment_fixed_size: 628
    .sgpr_count:     72
    .sgpr_spill_count: 0
    .symbol:         bluestein_single_back_len748_dim1_dp_op_CI_CI.kd
    .uniform_work_group_size: 1
    .uses_dynamic_stack: false
    .vgpr_count:     256
    .vgpr_spill_count: 218
    .wavefront_size: 64
amdhsa.target:   amdgcn-amd-amdhsa--gfx906
amdhsa.version:
  - 1
  - 2
...

	.end_amdgpu_metadata
